;; amdgpu-corpus repo=ROCm/rocFFT kind=compiled arch=gfx1030 opt=O3
	.text
	.amdgcn_target "amdgcn-amd-amdhsa--gfx1030"
	.amdhsa_code_object_version 6
	.protected	fft_rtc_back_len952_factors_17_4_2_7_wgs_204_tpt_68_halfLds_half_op_CI_CI_sbrr_dirReg ; -- Begin function fft_rtc_back_len952_factors_17_4_2_7_wgs_204_tpt_68_halfLds_half_op_CI_CI_sbrr_dirReg
	.globl	fft_rtc_back_len952_factors_17_4_2_7_wgs_204_tpt_68_halfLds_half_op_CI_CI_sbrr_dirReg
	.p2align	8
	.type	fft_rtc_back_len952_factors_17_4_2_7_wgs_204_tpt_68_halfLds_half_op_CI_CI_sbrr_dirReg,@function
fft_rtc_back_len952_factors_17_4_2_7_wgs_204_tpt_68_halfLds_half_op_CI_CI_sbrr_dirReg: ; @fft_rtc_back_len952_factors_17_4_2_7_wgs_204_tpt_68_halfLds_half_op_CI_CI_sbrr_dirReg
; %bb.0:
	s_clause 0x1
	s_load_dwordx4 s[16:19], s[4:5], 0x18
	s_load_dwordx4 s[12:15], s[4:5], 0x0
	v_mul_u32_u24_e32 v1, 0x3c4, v0
	v_mov_b32_e32 v5, 0
	v_mov_b32_e32 v3, 0
	v_mov_b32_e32 v4, 0
	s_load_dwordx4 s[8:11], s[4:5], 0x58
	s_waitcnt lgkmcnt(0)
	s_load_dwordx2 s[20:21], s[16:17], 0x0
	s_load_dwordx2 s[2:3], s[18:19], 0x0
	v_lshrrev_b32_e32 v1, 16, v1
	v_cmp_lt_u64_e64 s0, s[14:15], 2
	v_mov_b32_e32 v17, v4
	v_mov_b32_e32 v16, v3
	v_mad_u64_u32 v[1:2], null, s6, 3, v[1:2]
	v_mov_b32_e32 v2, v5
	s_and_b32 vcc_lo, exec_lo, s0
	v_mov_b32_e32 v21, v2
	v_mov_b32_e32 v20, v1
	s_cbranch_vccnz .LBB0_8
; %bb.1:
	s_load_dwordx2 s[0:1], s[4:5], 0x10
	v_mov_b32_e32 v3, 0
	v_mov_b32_e32 v4, 0
	s_add_u32 s6, s18, 8
	v_mov_b32_e32 v8, v2
	s_addc_u32 s7, s19, 0
	v_mov_b32_e32 v7, v1
	v_mov_b32_e32 v17, v4
	s_add_u32 s22, s16, 8
	v_mov_b32_e32 v16, v3
	s_addc_u32 s23, s17, 0
	s_mov_b64 s[26:27], 1
	s_waitcnt lgkmcnt(0)
	s_add_u32 s24, s0, 8
	s_addc_u32 s25, s1, 0
.LBB0_2:                                ; =>This Inner Loop Header: Depth=1
	s_load_dwordx2 s[28:29], s[24:25], 0x0
                                        ; implicit-def: $vgpr20_vgpr21
	s_mov_b32 s0, exec_lo
	s_waitcnt lgkmcnt(0)
	v_or_b32_e32 v6, s29, v8
	v_cmpx_ne_u64_e32 0, v[5:6]
	s_xor_b32 s1, exec_lo, s0
	s_cbranch_execz .LBB0_4
; %bb.3:                                ;   in Loop: Header=BB0_2 Depth=1
	v_cvt_f32_u32_e32 v2, s28
	v_cvt_f32_u32_e32 v6, s29
	s_sub_u32 s0, 0, s28
	s_subb_u32 s30, 0, s29
	v_fmac_f32_e32 v2, 0x4f800000, v6
	v_rcp_f32_e32 v2, v2
	v_mul_f32_e32 v2, 0x5f7ffffc, v2
	v_mul_f32_e32 v6, 0x2f800000, v2
	v_trunc_f32_e32 v6, v6
	v_fmac_f32_e32 v2, 0xcf800000, v6
	v_cvt_u32_f32_e32 v6, v6
	v_cvt_u32_f32_e32 v2, v2
	v_mul_lo_u32 v9, s0, v6
	v_mul_hi_u32 v10, s0, v2
	v_mul_lo_u32 v11, s30, v2
	v_add_nc_u32_e32 v9, v10, v9
	v_mul_lo_u32 v10, s0, v2
	v_add_nc_u32_e32 v9, v9, v11
	v_mul_hi_u32 v11, v2, v10
	v_mul_lo_u32 v12, v2, v9
	v_mul_hi_u32 v13, v2, v9
	v_mul_hi_u32 v14, v6, v10
	v_mul_lo_u32 v10, v6, v10
	v_mul_hi_u32 v15, v6, v9
	v_mul_lo_u32 v9, v6, v9
	v_add_co_u32 v11, vcc_lo, v11, v12
	v_add_co_ci_u32_e32 v12, vcc_lo, 0, v13, vcc_lo
	v_add_co_u32 v10, vcc_lo, v11, v10
	v_add_co_ci_u32_e32 v10, vcc_lo, v12, v14, vcc_lo
	v_add_co_ci_u32_e32 v11, vcc_lo, 0, v15, vcc_lo
	v_add_co_u32 v9, vcc_lo, v10, v9
	v_add_co_ci_u32_e32 v10, vcc_lo, 0, v11, vcc_lo
	v_add_co_u32 v2, vcc_lo, v2, v9
	v_add_co_ci_u32_e32 v6, vcc_lo, v6, v10, vcc_lo
	v_mul_hi_u32 v9, s0, v2
	v_mul_lo_u32 v11, s30, v2
	v_mul_lo_u32 v10, s0, v6
	v_add_nc_u32_e32 v9, v9, v10
	v_mul_lo_u32 v10, s0, v2
	v_add_nc_u32_e32 v9, v9, v11
	v_mul_hi_u32 v11, v2, v10
	v_mul_lo_u32 v12, v2, v9
	v_mul_hi_u32 v13, v2, v9
	v_mul_hi_u32 v14, v6, v10
	v_mul_lo_u32 v10, v6, v10
	v_mul_hi_u32 v15, v6, v9
	v_mul_lo_u32 v9, v6, v9
	v_add_co_u32 v11, vcc_lo, v11, v12
	v_add_co_ci_u32_e32 v12, vcc_lo, 0, v13, vcc_lo
	v_add_co_u32 v10, vcc_lo, v11, v10
	v_add_co_ci_u32_e32 v10, vcc_lo, v12, v14, vcc_lo
	v_add_co_ci_u32_e32 v11, vcc_lo, 0, v15, vcc_lo
	v_add_co_u32 v9, vcc_lo, v10, v9
	v_add_co_ci_u32_e32 v10, vcc_lo, 0, v11, vcc_lo
	v_add_co_u32 v2, vcc_lo, v2, v9
	v_add_co_ci_u32_e32 v6, vcc_lo, v6, v10, vcc_lo
	v_mul_hi_u32 v15, v7, v2
	v_mad_u64_u32 v[11:12], null, v8, v2, 0
	v_mad_u64_u32 v[9:10], null, v7, v6, 0
	v_mad_u64_u32 v[13:14], null, v8, v6, 0
	v_add_co_u32 v2, vcc_lo, v15, v9
	v_add_co_ci_u32_e32 v6, vcc_lo, 0, v10, vcc_lo
	v_add_co_u32 v2, vcc_lo, v2, v11
	v_add_co_ci_u32_e32 v2, vcc_lo, v6, v12, vcc_lo
	v_add_co_ci_u32_e32 v6, vcc_lo, 0, v14, vcc_lo
	v_add_co_u32 v2, vcc_lo, v2, v13
	v_add_co_ci_u32_e32 v6, vcc_lo, 0, v6, vcc_lo
	v_mul_lo_u32 v11, s29, v2
	v_mad_u64_u32 v[9:10], null, s28, v2, 0
	v_mul_lo_u32 v12, s28, v6
	v_sub_co_u32 v9, vcc_lo, v7, v9
	v_add3_u32 v10, v10, v12, v11
	v_sub_nc_u32_e32 v11, v8, v10
	v_subrev_co_ci_u32_e64 v11, s0, s29, v11, vcc_lo
	v_add_co_u32 v12, s0, v2, 2
	v_add_co_ci_u32_e64 v13, s0, 0, v6, s0
	v_sub_co_u32 v14, s0, v9, s28
	v_sub_co_ci_u32_e32 v10, vcc_lo, v8, v10, vcc_lo
	v_subrev_co_ci_u32_e64 v11, s0, 0, v11, s0
	v_cmp_le_u32_e32 vcc_lo, s28, v14
	v_cmp_eq_u32_e64 s0, s29, v10
	v_cndmask_b32_e64 v14, 0, -1, vcc_lo
	v_cmp_le_u32_e32 vcc_lo, s29, v11
	v_cndmask_b32_e64 v15, 0, -1, vcc_lo
	v_cmp_le_u32_e32 vcc_lo, s28, v9
	;; [unrolled: 2-line block ×3, first 2 shown]
	v_cndmask_b32_e64 v18, 0, -1, vcc_lo
	v_cmp_eq_u32_e32 vcc_lo, s29, v11
	v_cndmask_b32_e64 v9, v18, v9, s0
	v_cndmask_b32_e32 v11, v15, v14, vcc_lo
	v_add_co_u32 v14, vcc_lo, v2, 1
	v_add_co_ci_u32_e32 v15, vcc_lo, 0, v6, vcc_lo
	v_cmp_ne_u32_e32 vcc_lo, 0, v11
	v_cndmask_b32_e32 v10, v15, v13, vcc_lo
	v_cndmask_b32_e32 v11, v14, v12, vcc_lo
	v_cmp_ne_u32_e32 vcc_lo, 0, v9
	v_cndmask_b32_e32 v21, v6, v10, vcc_lo
	v_cndmask_b32_e32 v20, v2, v11, vcc_lo
.LBB0_4:                                ;   in Loop: Header=BB0_2 Depth=1
	s_andn2_saveexec_b32 s0, s1
	s_cbranch_execz .LBB0_6
; %bb.5:                                ;   in Loop: Header=BB0_2 Depth=1
	v_cvt_f32_u32_e32 v2, s28
	s_sub_i32 s1, 0, s28
	v_mov_b32_e32 v21, v5
	v_rcp_iflag_f32_e32 v2, v2
	v_mul_f32_e32 v2, 0x4f7ffffe, v2
	v_cvt_u32_f32_e32 v2, v2
	v_mul_lo_u32 v6, s1, v2
	v_mul_hi_u32 v6, v2, v6
	v_add_nc_u32_e32 v2, v2, v6
	v_mul_hi_u32 v2, v7, v2
	v_mul_lo_u32 v6, v2, s28
	v_add_nc_u32_e32 v9, 1, v2
	v_sub_nc_u32_e32 v6, v7, v6
	v_subrev_nc_u32_e32 v10, s28, v6
	v_cmp_le_u32_e32 vcc_lo, s28, v6
	v_cndmask_b32_e32 v6, v6, v10, vcc_lo
	v_cndmask_b32_e32 v2, v2, v9, vcc_lo
	v_cmp_le_u32_e32 vcc_lo, s28, v6
	v_add_nc_u32_e32 v9, 1, v2
	v_cndmask_b32_e32 v20, v2, v9, vcc_lo
.LBB0_6:                                ;   in Loop: Header=BB0_2 Depth=1
	s_or_b32 exec_lo, exec_lo, s0
	v_mul_lo_u32 v2, v21, s28
	v_mul_lo_u32 v6, v20, s29
	s_load_dwordx2 s[0:1], s[22:23], 0x0
	v_mad_u64_u32 v[9:10], null, v20, s28, 0
	s_load_dwordx2 s[28:29], s[6:7], 0x0
	s_add_u32 s26, s26, 1
	s_addc_u32 s27, s27, 0
	s_add_u32 s6, s6, 8
	s_addc_u32 s7, s7, 0
	s_add_u32 s22, s22, 8
	v_add3_u32 v2, v10, v6, v2
	v_sub_co_u32 v6, vcc_lo, v7, v9
	s_addc_u32 s23, s23, 0
	s_add_u32 s24, s24, 8
	v_sub_co_ci_u32_e32 v2, vcc_lo, v8, v2, vcc_lo
	s_addc_u32 s25, s25, 0
	s_waitcnt lgkmcnt(0)
	v_mul_lo_u32 v7, s0, v2
	v_mul_lo_u32 v8, s1, v6
	v_mad_u64_u32 v[3:4], null, s0, v6, v[3:4]
	v_mul_lo_u32 v2, s28, v2
	v_mul_lo_u32 v9, s29, v6
	v_mad_u64_u32 v[16:17], null, s28, v6, v[16:17]
	v_cmp_ge_u64_e64 s0, s[26:27], s[14:15]
	v_add3_u32 v4, v8, v4, v7
	v_add3_u32 v17, v9, v17, v2
	s_and_b32 vcc_lo, exec_lo, s0
	s_cbranch_vccnz .LBB0_8
; %bb.7:                                ;   in Loop: Header=BB0_2 Depth=1
	v_mov_b32_e32 v7, v20
	v_mov_b32_e32 v8, v21
	s_branch .LBB0_2
.LBB0_8:
	s_load_dwordx2 s[0:1], s[4:5], 0x28
	v_mul_hi_u32 v2, 0x3c3c3c4, v0
	s_lshl_b64 s[6:7], s[14:15], 3
	v_mov_b32_e32 v23, 0
	s_add_u32 s4, s18, s6
	s_addc_u32 s5, s19, s7
                                        ; implicit-def: $vgpr39
                                        ; implicit-def: $vgpr36
                                        ; implicit-def: $vgpr31
                                        ; implicit-def: $vgpr33
                                        ; implicit-def: $vgpr34
                                        ; implicit-def: $vgpr27
                                        ; implicit-def: $vgpr35
                                        ; implicit-def: $vgpr26
                                        ; implicit-def: $vgpr37
                                        ; implicit-def: $vgpr15
                                        ; implicit-def: $vgpr38
                                        ; implicit-def: $vgpr14
                                        ; implicit-def: $vgpr32
                                        ; implicit-def: $vgpr13
                                        ; implicit-def: $vgpr47
                                        ; implicit-def: $vgpr12
                                        ; implicit-def: $vgpr48
                                        ; implicit-def: $vgpr11
                                        ; implicit-def: $vgpr51
                                        ; implicit-def: $vgpr10
                                        ; implicit-def: $vgpr52
                                        ; implicit-def: $vgpr9
                                        ; implicit-def: $vgpr53
                                        ; implicit-def: $vgpr8
                                        ; implicit-def: $vgpr54
                                        ; implicit-def: $vgpr7
                                        ; implicit-def: $vgpr55
                                        ; implicit-def: $vgpr6
                                        ; implicit-def: $vgpr56
                                        ; implicit-def: $vgpr5
                                        ; implicit-def: $vgpr57
	v_mul_u32_u24_e32 v2, 0x44, v2
	v_sub_nc_u32_e32 v18, v0, v2
	v_mov_b32_e32 v0, 0
                                        ; implicit-def: $vgpr2
	s_waitcnt lgkmcnt(0)
	v_cmp_gt_u64_e32 vcc_lo, s[0:1], v[20:21]
	v_cmp_gt_u32_e64 s0, 56, v18
	s_and_b32 s1, vcc_lo, s0
	s_and_saveexec_b32 s14, s1
	s_cbranch_execz .LBB0_10
; %bb.9:
	s_add_u32 s6, s16, s6
	s_addc_u32 s7, s17, s7
	v_mad_u64_u32 v[5:6], null, s20, v18, 0
	s_load_dwordx2 s[6:7], s[6:7], 0x0
	v_add_nc_u32_e32 v15, 56, v18
	v_add_nc_u32_e32 v19, 0x70, v18
	;; [unrolled: 1-line block ×3, first 2 shown]
	v_lshlrev_b64 v[2:3], 2, v[3:4]
	v_add_nc_u32_e32 v29, 0xe0, v18
	v_mov_b32_e32 v0, v6
	v_mad_u64_u32 v[7:8], null, s20, v15, 0
	v_mad_u64_u32 v[9:10], null, s20, v19, 0
	;; [unrolled: 1-line block ×4, first 2 shown]
	v_mov_b32_e32 v0, v8
	v_mad_u64_u32 v[23:24], null, s20, v29, 0
	v_mov_b32_e32 v4, v10
	v_mov_b32_e32 v8, v12
	s_waitcnt lgkmcnt(0)
	v_mul_lo_u32 v6, s7, v20
	v_mul_lo_u32 v25, s6, v21
	v_mad_u64_u32 v[13:14], null, s6, v20, 0
	v_or_b32_e32 v30, 0x1c0, v18
	v_add_nc_u32_e32 v31, 0x1f8, v18
	v_add_nc_u32_e32 v36, 0x230, v18
	v_add_nc_u32_e32 v39, 0x268, v18
	v_add3_u32 v14, v14, v25, v6
	v_mad_u64_u32 v[25:26], null, s21, v15, v[0:1]
	v_mad_u64_u32 v[26:27], null, s21, v19, v[4:5]
	v_lshlrev_b64 v[12:13], 2, v[13:14]
	v_mov_b32_e32 v6, v22
	v_mad_u64_u32 v[14:15], null, s21, v28, v[8:9]
	v_mov_b32_e32 v8, v25
	v_add_nc_u32_e32 v15, 0x118, v18
	v_add_co_u32 v0, s1, s8, v12
	v_lshlrev_b64 v[4:5], 2, v[5:6]
	v_add_co_ci_u32_e64 v6, s1, s9, v13, s1
	v_mov_b32_e32 v10, v26
	v_add_co_u32 v19, s1, v0, v2
	v_mov_b32_e32 v0, v24
	v_add_co_ci_u32_e64 v33, s1, v6, v3, s1
	v_lshlrev_b64 v[2:3], 2, v[7:8]
	v_lshlrev_b64 v[6:7], 2, v[9:10]
	v_mov_b32_e32 v12, v14
	v_mad_u64_u32 v[8:9], null, s20, v15, 0
	v_mad_u64_u32 v[13:14], null, s21, v29, v[0:1]
	v_add_nc_u32_e32 v26, 0x150, v18
	v_lshlrev_b64 v[10:11], 2, v[11:12]
	v_add_nc_u32_e32 v27, 0x188, v18
	v_add_co_u32 v4, s1, v19, v4
	v_mov_b32_e32 v0, v9
	v_mov_b32_e32 v24, v13
	v_mad_u64_u32 v[12:13], null, s20, v26, 0
	v_add_co_ci_u32_e64 v5, s1, v33, v5, s1
	v_mad_u64_u32 v[14:15], null, s21, v15, v[0:1]
	v_lshlrev_b64 v[22:23], 2, v[23:24]
	v_mad_u64_u32 v[24:25], null, s20, v27, 0
	v_add_co_u32 v2, s1, v19, v2
	v_mov_b32_e32 v0, v13
	v_add_co_ci_u32_e64 v3, s1, v33, v3, s1
	v_add_co_u32 v6, s1, v19, v6
	v_add_co_ci_u32_e64 v7, s1, v33, v7, s1
	v_add_co_u32 v10, s1, v19, v10
	v_mov_b32_e32 v9, v14
	v_mad_u64_u32 v[13:14], null, s21, v26, v[0:1]
	v_mov_b32_e32 v0, v25
	v_add_co_ci_u32_e64 v11, s1, v33, v11, s1
	v_add_co_u32 v14, s1, v19, v22
	v_add_co_ci_u32_e64 v15, s1, v33, v23, s1
	v_mad_u64_u32 v[22:23], null, s21, v27, v[0:1]
	v_mad_u64_u32 v[26:27], null, s20, v30, 0
	v_lshlrev_b64 v[8:9], 2, v[8:9]
	v_mad_u64_u32 v[28:29], null, s20, v31, 0
	v_lshlrev_b64 v[12:13], 2, v[12:13]
	v_mov_b32_e32 v25, v22
	v_mov_b32_e32 v0, v27
	v_add_co_u32 v8, s1, v19, v8
	v_lshlrev_b64 v[22:23], 2, v[24:25]
	v_add_co_ci_u32_e64 v9, s1, v33, v9, s1
	v_mad_u64_u32 v[24:25], null, s21, v30, v[0:1]
	v_add_co_u32 v12, s1, v19, v12
	v_mov_b32_e32 v0, v29
	v_add_co_ci_u32_e64 v13, s1, v33, v13, s1
	v_add_co_u32 v29, s1, v19, v22
	v_mov_b32_e32 v27, v24
	v_mad_u64_u32 v[24:25], null, s20, v36, 0
	v_add_co_ci_u32_e64 v30, s1, v33, v23, s1
	v_mad_u64_u32 v[22:23], null, s21, v31, v[0:1]
	s_clause 0x7
	global_load_dword v23, v[4:5], off
	global_load_dword v2, v[2:3], off
	;; [unrolled: 1-line block ×8, first 2 shown]
	v_mad_u64_u32 v[5:6], null, s20, v39, 0
	v_mov_b32_e32 v0, v25
	v_lshlrev_b64 v[3:4], 2, v[26:27]
	v_add_nc_u32_e32 v30, 0x310, v18
	v_mov_b32_e32 v29, v22
	v_add_nc_u32_e32 v22, 0x2a0, v18
	v_mad_u64_u32 v[7:8], null, s21, v36, v[0:1]
	v_mov_b32_e32 v0, v6
	v_lshlrev_b64 v[8:9], 2, v[28:29]
	v_add_co_u32 v3, s1, v19, v3
	v_mad_u64_u32 v[10:11], null, s20, v22, 0
	v_add_co_ci_u32_e64 v4, s1, v33, v4, s1
	v_mov_b32_e32 v25, v7
	v_mad_u64_u32 v[6:7], null, s21, v39, v[0:1]
	v_add_co_u32 v7, s1, v19, v8
	v_add_co_ci_u32_e64 v8, s1, v33, v9, s1
	v_add_nc_u32_e32 v9, 0x2d8, v18
	v_mov_b32_e32 v0, v11
	v_lshlrev_b64 v[12:13], 2, v[24:25]
	v_lshlrev_b64 v[5:6], 2, v[5:6]
	v_mad_u64_u32 v[14:15], null, s20, v9, 0
	v_mad_u64_u32 v[24:25], null, s21, v22, v[0:1]
	;; [unrolled: 1-line block ×3, first 2 shown]
	v_add_nc_u32_e32 v22, 0x348, v18
	v_add_co_u32 v12, s1, v19, v12
	v_mov_b32_e32 v0, v15
	v_mov_b32_e32 v11, v24
	v_or_b32_e32 v24, 0x380, v18
	v_add_co_ci_u32_e64 v13, s1, v33, v13, s1
	v_mad_u64_u32 v[27:28], null, s21, v9, v[0:1]
	v_mov_b32_e32 v0, v26
	v_mad_u64_u32 v[28:29], null, s20, v22, 0
	v_lshlrev_b64 v[9:10], 2, v[10:11]
	v_add_co_u32 v5, s1, v19, v5
	v_mad_u64_u32 v[39:40], null, s21, v30, v[0:1]
	v_mad_u64_u32 v[40:41], null, s20, v24, 0
	v_mov_b32_e32 v0, v29
	v_mov_b32_e32 v15, v27
	v_add_co_ci_u32_e64 v6, s1, v33, v6, s1
	v_mov_b32_e32 v26, v39
	v_mad_u64_u32 v[29:30], null, s21, v22, v[0:1]
	v_mov_b32_e32 v0, v41
	v_lshlrev_b64 v[14:15], 2, v[14:15]
	v_add_co_u32 v9, s1, v19, v9
	v_add_co_ci_u32_e64 v10, s1, v33, v10, s1
	v_mad_u64_u32 v[41:42], null, s21, v24, v[0:1]
	v_lshlrev_b64 v[24:25], 2, v[25:26]
	v_add_co_u32 v14, s1, v19, v14
	v_lshlrev_b64 v[26:27], 2, v[28:29]
	v_add_co_ci_u32_e64 v15, s1, v33, v15, s1
	v_add_co_u32 v24, s1, v19, v24
	v_lshlrev_b64 v[28:29], 2, v[40:41]
	v_add_co_ci_u32_e64 v25, s1, v33, v25, s1
	v_add_co_u32 v26, s1, v19, v26
	v_add_co_ci_u32_e64 v27, s1, v33, v27, s1
	v_add_co_u32 v28, s1, v19, v28
	v_add_co_ci_u32_e64 v29, s1, v33, v29, s1
	s_clause 0x8
	global_load_dword v47, v[3:4], off
	global_load_dword v48, v[7:8], off
	;; [unrolled: 1-line block ×9, first 2 shown]
	s_waitcnt vmcnt(16)
	v_lshrrev_b32_e32 v0, 16, v23
	s_waitcnt vmcnt(15)
	v_lshrrev_b32_e32 v39, 16, v2
	;; [unrolled: 2-line block ×17, first 2 shown]
.LBB0_10:
	s_or_b32 exec_lo, exec_lo, s14
	v_sub_f16_e32 v62, v39, v5
	v_add_f16_e32 v40, v2, v57
	v_sub_f16_e32 v61, v36, v6
	v_add_f16_e32 v41, v31, v56
	v_sub_f16_e32 v65, v33, v7
	v_pk_mul_f16 v42, 0xb964bb29, v62 op_sel_hi:[1,0]
	v_add_f16_e32 v28, v34, v55
	v_pk_mul_f16 v43, 0xbbf7ba62, v61 op_sel_hi:[1,0]
	v_pk_mul_f16 v70, 0xbbf7bbb2, v62 op_sel_hi:[1,0]
	;; [unrolled: 1-line block ×3, first 2 shown]
	v_pk_fma_f16 v19, 0x39e93722, v40, v42 op_sel_hi:[1,0,1] neg_lo:[0,0,1] neg_hi:[0,0,1]
	v_pk_mul_f16 v72, 0xb1e13836, v61 op_sel_hi:[1,0]
	v_pk_fma_f16 v22, 0x2de8b8d2, v41, v43 op_sel_hi:[1,0,1] neg_lo:[0,0,1] neg_hi:[0,0,1]
	v_mul_hi_u32 v3, 0xaaaaaaab, v1
	v_pk_fma_f16 v25, 0xb8d2bbdd, v28, v30 op_sel_hi:[1,0,1] neg_lo:[0,0,1] neg_hi:[0,0,1]
	v_pk_add_f16 v19, v23, v19 op_sel_hi:[0,1]
	v_sub_f16_e32 v64, v27, v8
	v_pk_mul_f16 v74, 0x3bb23964, v65 op_sel_hi:[1,0]
	v_add_f16_e32 v4, v35, v54
	v_sub_f16_e32 v59, v26, v9
	v_pk_add_f16 v19, v22, v19
	v_pk_fma_f16 v22, 0x2de8b461, v40, v70 op_sel_hi:[1,0,1] neg_lo:[0,0,1] neg_hi:[0,0,1]
	v_pk_mul_f16 v29, 0xb1e13bb2, v64 op_sel_hi:[1,0]
	v_lshrrev_b32_e32 v3, 1, v3
	v_pk_mul_f16 v73, 0x35c8bb29, v64 op_sel_hi:[1,0]
	v_pk_add_f16 v19, v25, v19
	v_pk_fma_f16 v25, 0xbbddbacd, v41, v72 op_sel_hi:[1,0,1] neg_lo:[0,0,1] neg_hi:[0,0,1]
	v_pk_add_f16 v22, v23, v22 op_sel_hi:[0,1]
	v_add_f16_e32 v24, v37, v53
	v_sub_f16_e32 v63, v15, v10
	v_pk_mul_f16 v45, 0x38363964, v59 op_sel_hi:[1,0]
	v_pk_fma_f16 v46, 0xbbddb461, v4, v29 op_sel_hi:[1,0,1] neg_lo:[0,0,1] neg_hi:[0,0,1]
	v_pk_add_f16 v22, v25, v22
	v_pk_fma_f16 v25, 0xb46139e9, v28, v74 op_sel_hi:[1,0,1] neg_lo:[0,0,1] neg_hi:[0,0,1]
	v_lshl_add_u32 v75, v3, 1, v3
	v_pk_mul_f16 v71, 0xbb29b1e1, v59 op_sel_hi:[1,0]
	v_add_f16_e32 v44, v38, v52
	v_sub_f16_e32 v67, v14, v11
	v_pk_add_f16 v3, v25, v22
	v_pk_fma_f16 v22, 0x3b763722, v4, v73 op_sel_hi:[1,0,1] neg_lo:[0,0,1] neg_hi:[0,0,1]
	v_pk_fma_f16 v49, 0xbacd39e9, v24, v45 op_sel_hi:[1,0,1] neg_lo:[0,0,1] neg_hi:[0,0,1]
	v_pk_add_f16 v19, v46, v19
	v_pk_mul_f16 v46, 0x3bb2b5c8, v63 op_sel_hi:[1,0]
	v_pk_mul_f16 v69, 0xb8363bf7, v63 op_sel_hi:[1,0]
	v_pk_add_f16 v3, v22, v3
	v_pk_fma_f16 v22, 0x3722bbdd, v24, v71 op_sel_hi:[1,0,1] neg_lo:[0,0,1] neg_hi:[0,0,1]
	v_pk_add_f16 v19, v49, v19
	v_pk_fma_f16 v25, 0xb4613b76, v44, v46 op_sel_hi:[1,0,1] neg_lo:[0,0,1] neg_hi:[0,0,1]
	v_add_f16_e32 v58, v32, v51
	v_pk_mul_f16 v49, 0x3b29bbf7, v67 op_sel_hi:[1,0]
	v_sub_f16_e32 v66, v13, v12
	v_pk_add_f16 v3, v22, v3
	v_pk_fma_f16 v22, 0xbacd2de8, v44, v69 op_sel_hi:[1,0,1] neg_lo:[0,0,1] neg_hi:[0,0,1]
	v_pk_mul_f16 v68, 0x3a62b5c8, v67 op_sel_hi:[1,0]
	v_pk_add_f16 v19, v25, v19
	v_pk_fma_f16 v25, 0x37222de8, v58, v49 op_sel_hi:[1,0,1] neg_lo:[0,0,1] neg_hi:[0,0,1]
	v_add_f16_e32 v60, v47, v48
	v_pk_mul_f16 v50, 0x35c8b836, v66 op_sel_hi:[1,0]
	v_pk_add_f16 v22, v22, v3
	v_pk_fma_f16 v76, 0xb8d23b76, v58, v68 op_sel_hi:[1,0,1] neg_lo:[0,0,1] neg_hi:[0,0,1]
	v_pk_mul_f16 v3, 0x3964ba62, v66 op_sel_hi:[1,0]
	v_sub_nc_u32_e32 v1, v1, v75
	v_pk_add_f16 v19, v25, v19
	v_pk_fma_f16 v25, 0x3b76bacd, v60, v50 op_sel_hi:[1,0,1] neg_lo:[0,0,1] neg_hi:[0,0,1]
	v_pk_add_f16 v22, v76, v22
	v_pk_fma_f16 v75, 0x39e9b8d2, v60, v3 op_sel_hi:[1,0,1] neg_lo:[0,0,1] neg_hi:[0,0,1]
	v_mul_u32_u24_e32 v1, 0x3b8, v1
	v_pk_add_f16 v19, v25, v19
	v_pk_add_f16 v25, v75, v22
	v_lshlrev_b32_e32 v22, 1, v1
	s_and_saveexec_b32 s1, s0
	s_cbranch_execz .LBB0_12
; %bb.11:
	v_mul_f16_e32 v1, 0xb8d2, v40
	v_mul_f16_e32 v77, 0xb461, v41
	;; [unrolled: 1-line block ×5, first 2 shown]
	v_fmamk_f16 v79, v62, 0x3a62, v1
	v_fmamk_f16 v83, v61, 0xbbb2, v77
	;; [unrolled: 1-line block ×4, first 2 shown]
	v_mul_f16_e32 v91, 0x39e9, v44
	v_add_f16_e32 v79, v23, v79
	v_fmamk_f16 v93, v59, 0xbbf7, v88
	v_fmac_f16_e32 v1, 0xba62, v62
	v_fmamk_f16 v77, v61, 0x3bb2, v77
	v_fmamk_f16 v95, v63, 0x3964, v91
	v_add_f16_e32 v79, v83, v79
	v_pk_mul_f16 v94, 0x2de8b461, v40 op_sel_hi:[1,0]
	v_add_f16_e32 v1, v23, v1
	v_fmac_f16_e32 v81, 0xb5c8, v65
	v_fmac_f16_e32 v85, 0xb836, v64
	v_add_f16_e32 v79, v87, v79
	v_add_f16_e32 v70, v70, v94
	;; [unrolled: 1-line block ×3, first 2 shown]
	v_pack_b32_f16 v78, v62, v62
	v_mul_f16_e32 v62, 0xb5c8, v62
	v_add_f16_e32 v79, v90, v79
	v_mul_f16_e32 v90, 0xbbdd, v58
	v_add_f16_e32 v1, v81, v1
	v_add_f16_e32 v70, v23, v70
	v_pack_b32_f16 v86, v61, v61
	v_add_f16_e32 v79, v93, v79
	v_fmamk_f16 v96, v67, 0x31e1, v90
	v_add_f16_e32 v1, v85, v1
	v_pk_mul_f16 v85, 0xb46139e9, v28 op_sel_hi:[1,0]
	v_mul_f16_e32 v61, 0xb964, v61
	v_add_f16_e32 v79, v95, v79
	v_pack_b32_f16 v75, v40, v40
	v_pk_mul_f16 v76, 0x39e93722, v40 op_sel_hi:[1,0]
	v_add_f16_e32 v74, v74, v85
	v_fma_f16 v85, v40, 0x3b76, -v62
	v_add_f16_e32 v77, v96, v79
	v_pk_mul_f16 v79, 0xbbddbacd, v41 op_sel_hi:[1,0]
	v_mul_f16_e32 v40, 0x3b76, v40
	v_pack_b32_f16 v87, v65, v65
	v_mul_f16_e32 v65, 0xbb29, v65
	v_pack_b32_f16 v82, v41, v41
	v_add_f16_e32 v72, v72, v79
	v_pk_mul_f16 v84, 0x2de8b8d2, v41 op_sel_hi:[1,0]
	v_bfi_b32 v42, 0xffff, v62, v42
	v_bfi_b32 v40, 0xffff, v40, v76
	v_pack_b32_f16 v96, v64, v64
	v_add_f16_e32 v70, v72, v70
	v_pk_mul_f16 v72, 0x3b763722, v4 op_sel_hi:[1,0]
	v_fmamk_f16 v88, v59, 0x3bf7, v88
	v_mul_f16_e32 v64, 0xbbf7, v64
	v_perm_b32 v80, v23, v23, 0x5040100
	v_add_f16_e32 v70, v74, v70
	v_add_f16_e32 v72, v73, v72
	;; [unrolled: 1-line block ×3, first 2 shown]
	v_fma_f16 v74, v41, 0x39e9, -v61
	v_mul_f16_e32 v41, 0x39e9, v41
	v_pk_mul_f16 v85, 0x3722bbdd, v24 op_sel_hi:[1,0]
	v_pack_b32_f16 v83, v28, v28
	v_pk_mul_f16 v89, 0xb8d2bbdd, v28 op_sel_hi:[1,0]
	v_add_f16_e32 v73, v74, v73
	v_fma_f16 v74, v28, 0x3722, -v65
	v_bfi_b32 v43, 0xffff, v61, v43
	v_bfi_b32 v41, 0xffff, v41, v84
	v_pk_add_f16 v40, v42, v40
	v_mul_f16_e32 v28, 0x3722, v28
	v_add_f16_e32 v1, v88, v1
	v_pack_b32_f16 v88, v59, v59
	v_add_f16_e32 v70, v72, v70
	v_add_f16_e32 v71, v71, v85
	;; [unrolled: 1-line block ×3, first 2 shown]
	v_fma_f16 v74, v4, 0x2de8, -v64
	v_mul_f16_e32 v59, 0xbbb2, v59
	v_add_f16_e32 v23, v23, v2
	v_pack_b32_f16 v92, v4, v4
	v_pk_mul_f16 v95, 0xbbddb461, v4 op_sel_hi:[1,0]
	v_pk_add_f16 v41, v43, v41
	v_pk_add_f16 v40, v80, v40
	v_bfi_b32 v30, 0xffff, v65, v30
	v_bfi_b32 v28, 0xffff, v28, v89
	v_mul_f16_e32 v4, 0x2de8, v4
	v_pk_mul_f16 v85, 0xbacd2de8, v44 op_sel_hi:[1,0]
	v_add_f16_e32 v70, v71, v70
	v_add_f16_e32 v71, v74, v73
	v_fma_f16 v73, v24, 0xb461, -v59
	v_mul_f16_e32 v74, 0xba62, v63
	v_add_f16_e32 v23, v23, v31
	v_pack_b32_f16 v81, v24, v24
	v_pk_mul_f16 v79, 0xbacd39e9, v24 op_sel_hi:[1,0]
	v_fmac_f16_e32 v91, 0xb964, v63
	v_pk_add_f16 v40, v41, v40
	v_pk_add_f16 v28, v30, v28
	v_bfi_b32 v29, 0xffff, v64, v29
	v_bfi_b32 v4, 0xffff, v4, v95
	v_mul_f16_e32 v24, 0xb461, v24
	v_add_f16_e32 v69, v69, v85
	v_add_f16_e32 v71, v73, v71
	v_fma_f16 v73, v44, 0xb8d2, -v74
	v_mul_f16_e32 v85, 0xb836, v67
	v_add_f16_e32 v23, v23, v34
	v_pack_b32_f16 v72, v44, v44
	v_add_f16_e32 v1, v91, v1
	v_pk_mul_f16 v91, 0xb4613b76, v44 op_sel_hi:[1,0]
	v_pk_add_f16 v28, v28, v40
	v_mul_f16_e32 v44, 0xb8d2, v44
	v_pk_add_f16 v4, v29, v4
	v_bfi_b32 v29, 0xffff, v59, v45
	v_bfi_b32 v24, 0xffff, v24, v79
	v_pk_mul_f16 v59, 0x2de83722, v75
	v_add_f16_e32 v69, v69, v70
	v_pk_mul_f16 v70, 0xb8d23b76, v58 op_sel_hi:[1,0]
	v_add_f16_e32 v71, v73, v71
	v_fma_f16 v73, v58, 0xbacd, -v85
	v_add_f16_e32 v23, v23, v35
	v_pk_add_f16 v4, v4, v28
	v_pk_add_f16 v24, v29, v24
	v_bfi_b32 v28, 0xffff, v74, v46
	v_bfi_b32 v29, 0xffff, v44, v91
	v_pk_fma_f16 v44, 0xbbf7bb29, v78, v59
	v_pk_mul_f16 v46, 0xbbddb8d2, v82
	v_mul_f16_e32 v93, 0x3b29, v66
	v_pk_add_f16 v68, v68, v70
	v_pack_b32_f16 v70, v58, v58
	v_add_f16_e32 v71, v73, v71
	v_pk_mul_f16 v73, 0x37222de8, v58 op_sel_hi:[1,0]
	v_pack_b32_f16 v61, v66, v66
	v_mul_f16_e32 v66, 0xb1e1, v66
	v_mul_f16_e32 v58, 0xbacd, v58
	v_add_f16_e32 v23, v23, v37
	v_pk_add_f16 v4, v24, v4
	v_pk_add_f16 v24, v28, v29
	;; [unrolled: 1-line block ×3, first 2 shown]
	v_pk_fma_f16 v29, 0xb1e1ba62, v86, v46
	v_pk_mul_f16 v44, 0xb461bbdd, v83
	v_fma_f16 v97, v60, 0x3722, -v93
	v_pack_b32_f16 v62, v60, v60
	v_pk_mul_f16 v76, 0x3b76bacd, v60 op_sel_hi:[1,0]
	v_pk_mul_f16 v84, 0x39e9b8d2, v60 op_sel_hi:[1,0]
	v_fma_f16 v89, v60, 0xbbdd, -v66
	v_mul_f16_e32 v94, 0x3722, v60
	v_mul_f16_e32 v60, 0xbbdd, v60
	v_bfi_b32 v46, 0xffff, v85, v49
	v_bfi_b32 v49, 0xffff, v58, v73
	v_add_f16_e32 v23, v23, v38
	v_pk_add_f16 v4, v24, v4
	v_pk_add_f16 v24, v29, v28
	v_pk_fma_f16 v28, 0x3bb231e1, v87, v44
	v_pk_mul_f16 v29, 0x3b76b461, v92
	v_pk_mul_f16 v42, 0xb1e1b836, v78
	v_pk_add_f16 v44, v46, v49
	v_bfi_b32 v46, 0xffff, v66, v50
	v_bfi_b32 v49, 0xffff, v60, v76
	v_add_f16_e32 v23, v23, v32
	v_pk_add_f16 v24, v28, v24
	v_pk_fma_f16 v28, 0x35c83bb2, v96, v29
	v_pk_mul_f16 v29, 0x372239e9, v81
	v_pk_mul_f16 v43, 0x35c83b29, v86
	v_pk_add_f16 v4, v44, v4
	v_pk_add_f16 v44, v46, v49
	v_pk_fma_f16 v46, 0xbbddbacd, v75, v42 neg_lo:[0,0,1] neg_hi:[0,0,1]
	v_add_f16_e32 v23, v23, v47
	v_pack_b32_f16 v63, v63, v63
	v_pk_add_f16 v24, v28, v24
	v_pk_fma_f16 v28, 0xbb293964, v88, v29
	v_pk_mul_f16 v29, 0xbacd3b76, v72
	v_pk_fma_f16 v42, 0xbbddbacd, v75, v42
	v_pk_mul_f16 v65, 0xb836bbf7, v87
	v_pk_add_f16 v46, v80, v46
	v_pk_fma_f16 v49, 0x3b763722, v82, v43 neg_lo:[0,0,1] neg_hi:[0,0,1]
	v_add_f16_e32 v23, v23, v48
	v_pk_add_f16 v24, v28, v24
	v_pk_fma_f16 v28, 0xb836b5c8, v63, v29
	v_pk_add_f16 v29, v80, v42
	v_pk_fma_f16 v42, 0x3b763722, v82, v43
	v_pk_mul_f16 v41, 0x39643a62, v96
	v_pk_add_f16 v43, v49, v46
	v_pk_fma_f16 v46, 0xbacd2de8, v83, v65 neg_lo:[0,0,1] neg_hi:[0,0,1]
	v_add_f16_e32 v23, v23, v51
	v_pk_add_f16 v29, v42, v29
	v_pk_fma_f16 v42, 0xbacd2de8, v83, v65
	v_pk_mul_f16 v30, 0xba62b5c8, v88
	v_pk_add_f16 v43, v46, v43
	v_pk_fma_f16 v46, 0x39e9b8d2, v92, v41 neg_lo:[0,0,1] neg_hi:[0,0,1]
	v_add_f16_e32 v23, v23, v52
	v_pk_add_f16 v29, v42, v29
	v_pk_fma_f16 v41, 0x39e9b8d2, v92, v41
	v_fmac_f16_e32 v90, 0xb1e1, v67
	v_pack_b32_f16 v67, v67, v67
	v_add_f16_e32 v71, v89, v71
	v_pk_mul_f16 v89, 0x3b29b1e1, v63
	v_pk_add_f16 v42, v46, v43
	v_pk_fma_f16 v43, 0xb8d23b76, v81, v30 neg_lo:[0,0,1] neg_hi:[0,0,1]
	v_add_f16_e32 v23, v23, v53
	v_pk_add_f16 v29, v41, v29
	v_pk_fma_f16 v30, 0xb8d23b76, v81, v30
	v_pk_mul_f16 v40, 0xbbb23964, v67
	v_pk_add_f16 v41, v43, v42
	v_pk_fma_f16 v42, 0x3722bbdd, v72, v89 neg_lo:[0,0,1] neg_hi:[0,0,1]
	v_add_f16_e32 v23, v23, v54
	v_pk_add_f16 v24, v28, v24
	v_pk_mul_f16 v28, 0xb8d22de8, v70
	v_pk_add_f16 v29, v30, v29
	v_pk_fma_f16 v30, 0x3722bbdd, v72, v89
	v_pk_mul_f16 v64, 0x3bf7bbb2, v61
	v_pk_add_f16 v41, v42, v41
	v_pk_fma_f16 v42, 0xb46139e9, v70, v40 neg_lo:[0,0,1] neg_hi:[0,0,1]
	v_add_f16_e32 v23, v23, v55
	v_pk_fma_f16 v28, 0x3a62bbf7, v67, v28
	v_pk_mul_f16 v49, 0x39e9bacd, v62
	v_pack_b32_f16 v43, v68, v93
	v_pack_b32_f16 v46, v69, v94
	v_perm_b32 v3, v90, v3, 0x5040100
	v_perm_b32 v1, v1, v84, 0x5040100
	v_pk_add_f16 v29, v30, v29
	v_pk_fma_f16 v30, 0xb46139e9, v70, v40
	v_pk_add_f16 v40, v42, v41
	v_pk_fma_f16 v41, 0x2de8b461, v62, v64 neg_lo:[0,0,1] neg_hi:[0,0,1]
	v_add_f16_e32 v23, v23, v56
	v_mul_u32_u24_e32 v45, 34, v18
	v_pk_add_f16 v24, v28, v24
	v_pk_fma_f16 v28, 0x3964b836, v61, v49
	v_pk_add_f16 v42, v43, v46
	v_pk_add_f16 v1, v3, v1
	;; [unrolled: 1-line block ×3, first 2 shown]
	v_pk_fma_f16 v29, 0x2de8b461, v62, v64
	v_add_f16_e32 v77, v97, v77
	v_pk_add_f16 v30, v41, v40
	v_add_f16_e32 v23, v23, v57
	v_add3_u32 v45, 0, v45, v22
	v_pk_add_f16 v40, v44, v4
	v_pk_add_f16 v41, v28, v24
	;; [unrolled: 1-line block ×4, first 2 shown]
	v_alignbit_b32 v58, v30, v30, 16
	v_perm_b32 v59, v25, v77, 0x5040100
	v_alignbit_b32 v61, v71, v19, 16
	v_alignbit_b32 v60, v19, v25, 16
	ds_write_b16 v45, v23
	ds_write_b128 v45, v[40:43] offset:2
	ds_write_b128 v45, v[58:61] offset:18
.LBB0_12:
	s_or_b32 exec_lo, exec_lo, s1
	v_lshlrev_b32_e32 v3, 1, v18
	s_waitcnt lgkmcnt(0)
	s_barrier
	buffer_gl0_inv
	v_cmp_gt_u32_e64 s1, 34, v18
	v_add_nc_u32_e32 v1, 0, v3
	v_add3_u32 v23, 0, v22, v3
	v_add_nc_u32_e32 v24, v1, v22
	ds_read_u16 v42, v23
	ds_read_u16 v40, v24 offset:136
	ds_read_u16 v43, v24 offset:612
	ds_read_u16 v28, v24 offset:1088
	ds_read_u16 v29, v24 offset:952
	ds_read_u16 v44, v24 offset:748
	ds_read_u16 v49, v24 offset:476
	ds_read_u16 v41, v24 offset:272
	ds_read_u16 v46, v24 offset:1564
	ds_read_u16 v45, v24 offset:1700
	ds_read_u16 v50, v24 offset:1428
	ds_read_u16 v30, v24 offset:1224
	s_and_saveexec_b32 s6, s1
	s_cbranch_execz .LBB0_14
; %bb.13:
	ds_read_u16 v25, v24 offset:408
	ds_read_u16 v19, v24 offset:1360
	s_waitcnt lgkmcnt(1)
	ds_read_u16_d16_hi v25, v24 offset:884
	s_waitcnt lgkmcnt(1)
	ds_read_u16_d16_hi v19, v24 offset:1836
.LBB0_14:
	s_or_b32 exec_lo, exec_lo, s6
	v_sub_f16_e32 v73, v2, v57
	v_add_f16_e32 v70, v39, v5
	v_sub_f16_e32 v72, v31, v56
	v_sub_f16_e32 v67, v35, v54
	v_add_f16_e32 v69, v36, v6
	v_pk_mul_f16 v58, 0xb964bb29, v73 op_sel_hi:[1,0]
	v_pk_mul_f16 v35, 0xbbf7bbb2, v73 op_sel_hi:[1,0]
	v_sub_f16_e32 v71, v34, v55
	v_sub_f16_e32 v65, v37, v53
	v_pk_mul_f16 v66, 0xbbf7ba62, v72 op_sel_hi:[1,0]
	v_pk_fma_f16 v2, 0x39e93722, v70, v58 op_sel_hi:[1,0,1]
	v_pk_fma_f16 v3, 0x2de8b461, v70, v35 op_sel_hi:[1,0,1]
	v_pk_mul_f16 v37, 0xb1e13836, v72 op_sel_hi:[1,0]
	v_add_f16_e32 v68, v33, v7
	v_sub_f16_e32 v56, v38, v52
	v_sub_f16_e32 v54, v32, v51
	v_pk_add_f16 v2, v0, v2 op_sel_hi:[0,1]
	v_pk_fma_f16 v32, 0x2de8b8d2, v69, v66 op_sel_hi:[1,0,1]
	v_pk_mul_f16 v64, 0xba6231e1, v71 op_sel_hi:[1,0]
	v_pk_add_f16 v3, v0, v3 op_sel_hi:[0,1]
	v_pk_fma_f16 v34, 0xbbddbacd, v69, v37 op_sel_hi:[1,0,1]
	v_pk_mul_f16 v38, 0x3bb23964, v71 op_sel_hi:[1,0]
	v_add_f16_e32 v60, v27, v8
	v_sub_f16_e32 v31, v47, v48
	v_pk_add_f16 v2, v32, v2
	v_pk_fma_f16 v32, 0xb8d2bbdd, v68, v64 op_sel_hi:[1,0,1]
	v_pk_mul_f16 v63, 0xb1e13bb2, v67 op_sel_hi:[1,0]
	v_pk_add_f16 v3, v34, v3
	v_pk_fma_f16 v34, 0xb46139e9, v68, v38 op_sel_hi:[1,0,1]
	v_pk_mul_f16 v47, 0x35c8bb29, v67 op_sel_hi:[1,0]
	v_add_f16_e32 v57, v26, v9
	v_pk_add_f16 v2, v32, v2
	v_pk_fma_f16 v32, 0xbbddb461, v60, v63 op_sel_hi:[1,0,1]
	v_pk_mul_f16 v62, 0x38363964, v65 op_sel_hi:[1,0]
	v_pk_add_f16 v3, v34, v3
	v_pk_fma_f16 v34, 0x3b763722, v60, v47 op_sel_hi:[1,0,1]
	v_pk_mul_f16 v48, 0xbb29b1e1, v65 op_sel_hi:[1,0]
	v_add_f16_e32 v53, v15, v10
	;; [unrolled: 7-line block ×4, first 2 shown]
	v_pk_add_f16 v2, v32, v2
	v_pk_fma_f16 v75, 0x37222de8, v52, v59 op_sel_hi:[1,0,1]
	v_pk_mul_f16 v55, 0x35c8b836, v31 op_sel_hi:[1,0]
	v_pk_add_f16 v3, v74, v3
	v_pk_fma_f16 v74, 0xb8d23b76, v52, v34 op_sel_hi:[1,0,1]
	v_pk_mul_f16 v32, 0x3964ba62, v31 op_sel_hi:[1,0]
	v_pk_add_f16 v2, v75, v2
	v_pk_fma_f16 v75, 0x3b76bacd, v4, v55 op_sel_hi:[1,0,1]
	s_waitcnt lgkmcnt(0)
	v_pk_add_f16 v74, v74, v3
	v_pk_fma_f16 v76, 0x39e9b8d2, v4, v32 op_sel_hi:[1,0,1]
	s_barrier
	v_pk_add_f16 v3, v75, v2
	buffer_gl0_inv
	v_pk_add_f16 v2, v76, v74
	s_and_saveexec_b32 s6, s0
	s_cbranch_execz .LBB0_16
; %bb.15:
	v_add_f16_e32 v39, v0, v39
	v_mul_f16_e32 v100, 0xb5c8, v73
	v_pack_b32_f16 v74, v70, v70
	v_pk_mul_f16 v75, 0x39e93722, v70 op_sel_hi:[1,0]
	v_pk_mul_f16 v93, 0x2de8b461, v70 op_sel_hi:[1,0]
	v_add_f16_e32 v36, v39, v36
	v_mul_f16_e32 v99, 0x3b76, v70
	v_mul_f16_e32 v101, 0xbbdd, v70
	;; [unrolled: 1-line block ×3, first 2 shown]
	v_fmamk_f16 v106, v70, 0x3b76, v100
	v_add_f16_e32 v33, v36, v33
	v_pack_b32_f16 v76, v73, v73
	v_pack_b32_f16 v39, v69, v69
	v_pk_mul_f16 v78, 0x2de8b8d2, v69 op_sel_hi:[1,0]
	v_pk_mul_f16 v94, 0xbbddbacd, v69 op_sel_hi:[1,0]
	v_add_f16_e32 v27, v33, v27
	v_mul_f16_e32 v103, 0x3b76, v69
	v_mul_f16_e32 v104, 0xbb29, v71
	v_add_f16_e32 v106, v0, v106
	v_pack_b32_f16 v79, v72, v72
	v_add_f16_e32 v26, v27, v26
	v_pack_b32_f16 v80, v68, v68
	v_pk_mul_f16 v36, 0xb8d2bbdd, v68 op_sel_hi:[1,0]
	v_pk_mul_f16 v95, 0xb46139e9, v68 op_sel_hi:[1,0]
	v_mul_f16_e32 v105, 0xbacd, v68
	v_add_f16_e32 v15, v26, v15
	v_pack_b32_f16 v86, v65, v65
	v_pack_b32_f16 v81, v71, v71
	v_bfi_b32 v75, 0xffff, v99, v75
	v_bfi_b32 v58, 0xffff, v100, v58
	v_add_f16_e32 v14, v15, v14
	v_perm_b32 v77, v0, v0, 0x5040100
	v_pack_b32_f16 v33, v67, v67
	v_bfi_b32 v66, 0xffff, v102, v66
	v_pk_add_f16 v58, v75, v58 neg_lo:[0,1] neg_hi:[0,1]
	v_add_f16_e32 v13, v14, v13
	v_pk_mul_f16 v83, 0xbbddb461, v60 op_sel_hi:[1,0]
	v_bfi_b32 v64, 0xffff, v104, v64
	v_pack_b32_f16 v84, v57, v57
	v_pk_add_f16 v58, v77, v58
	v_add_f16_e32 v12, v13, v12
	v_pk_mul_f16 v85, 0xbacd39e9, v57 op_sel_hi:[1,0]
	v_pack_b32_f16 v88, v56, v56
	v_pk_mul_f16 v96, 0x3722bbdd, v57 op_sel_hi:[1,0]
	v_pack_b32_f16 v27, v53, v53
	v_add_f16_e32 v11, v12, v11
	v_mul_f16_e32 v12, 0xb1e1, v73
	v_mul_f16_e32 v73, 0x39e9, v69
	v_pk_mul_f16 v87, 0xb4613b76, v53 op_sel_hi:[1,0]
	v_pk_mul_f16 v97, 0xbacd2de8, v53 op_sel_hi:[1,0]
	v_add_f16_e32 v10, v11, v10
	v_mul_f16_e32 v11, 0x35c8, v72
	v_fma_f16 v70, v70, 0xbbdd, -v12
	v_mul_f16_e32 v72, 0x3722, v68
	v_pk_mul_f16 v26, 0x37222de8, v52 op_sel_hi:[1,0]
	v_add_f16_e32 v9, v10, v9
	v_mul_f16_e32 v10, 0xb836, v71
	v_add_f16_e32 v70, v0, v70
	v_mul_f16_e32 v71, 0xbbf7, v67
	v_bfi_b32 v36, 0xffff, v72, v36
	v_add_f16_e32 v8, v9, v8
	v_fmamk_f16 v9, v69, 0x39e9, v102
	v_fma_f16 v69, v69, 0x3b76, -v11
	v_bfi_b32 v63, 0xffff, v71, v63
	v_pk_add_f16 v36, v36, v64 neg_lo:[0,1] neg_hi:[0,1]
	v_add_f16_e32 v7, v8, v7
	v_fmamk_f16 v8, v68, 0x3722, v104
	v_fma_f16 v68, v68, 0xbacd, -v10
	v_add_f16_e32 v9, v9, v106
	v_add_f16_e32 v69, v69, v70
	;; [unrolled: 1-line block ×3, first 2 shown]
	v_mul_f16_e32 v7, 0x3964, v67
	v_fmamk_f16 v67, v60, 0x2de8, v71
	v_add_f16_e32 v8, v8, v9
	v_add_f16_e32 v9, v68, v69
	;; [unrolled: 1-line block ×3, first 2 shown]
	v_fma_f16 v6, v60, 0x39e9, -v7
	v_mul_f16_e32 v69, 0xbbb2, v65
	v_mul_f16_e32 v65, 0xba62, v65
	;; [unrolled: 1-line block ×3, first 2 shown]
	v_add_f16_e32 v8, v67, v8
	v_add_f16_e32 v6, v6, v9
	v_fmamk_f16 v9, v57, 0xb461, v69
	v_fma_f16 v70, v57, 0xb8d2, -v65
	v_mul_f16_e32 v67, 0xb461, v57
	v_bfi_b32 v5, 0xffff, v5, v83
	v_bfi_b32 v62, 0xffff, v69, v62
	v_add_f16_e32 v8, v9, v8
	v_add_f16_e32 v6, v70, v6
	v_bfi_b32 v70, 0xffff, v73, v78
	v_mul_f16_e32 v9, 0xb8d2, v57
	v_mul_f16_e32 v57, 0xba62, v56
	;; [unrolled: 1-line block ×4, first 2 shown]
	v_pk_add_f16 v66, v70, v66 neg_lo:[0,1] neg_hi:[0,1]
	v_mul_f16_e32 v70, 0x3722, v53
	v_fmamk_f16 v75, v53, 0xb8d2, v57
	v_fma_f16 v53, v53, 0x3722, -v56
	v_pk_add_f16 v5, v5, v63 neg_lo:[0,1] neg_hi:[0,1]
	v_pk_add_f16 v58, v66, v58
	v_mul_f16_e32 v63, 0xbacd, v52
	v_bfi_b32 v57, 0xffff, v57, v61
	v_add_f16_e32 v6, v53, v6
	v_mul_f16_e32 v53, 0xb836, v54
	v_pk_add_f16 v36, v36, v58
	v_bfi_b32 v58, 0xffff, v67, v85
	v_bfi_b32 v26, 0xffff, v63, v26
	v_sub_f16_e32 v35, v93, v35
	v_fmamk_f16 v64, v52, 0xbacd, v53
	v_pk_add_f16 v5, v5, v36
	v_pk_add_f16 v36, v58, v62 neg_lo:[0,1] neg_hi:[0,1]
	v_bfi_b32 v58, 0xffff, v73, v87
	v_bfi_b32 v53, 0xffff, v53, v59
	v_pk_mul_f16 v59, 0x3bf73b29, v76
	v_pack_b32_f16 v82, v60, v60
	v_pk_add_f16 v5, v36, v5
	v_pk_add_f16 v36, v58, v57 neg_lo:[0,1] neg_hi:[0,1]
	v_pk_add_f16 v26, v26, v53 neg_lo:[0,1] neg_hi:[0,1]
	v_pk_fma_f16 v53, 0x2de83722, v74, v59
	v_pk_mul_f16 v59, 0x31e13a62, v79
	v_pk_mul_f16 v92, 0x3b76bacd, v4 op_sel_hi:[1,0]
	v_pk_add_f16 v5, v36, v5
	v_pk_mul_f16 v14, 0x3b763722, v60 op_sel_hi:[1,0]
	v_mul_f16_e32 v57, 0xbbdd, v4
	v_mul_f16_e32 v58, 0xb1e1, v31
	v_pack_b32_f16 v90, v54, v54
	v_pk_add_f16 v5, v26, v5
	v_add_f16_e32 v26, v0, v35
	v_sub_f16_e32 v35, v94, v37
	v_pk_add_f16 v37, v77, v53
	v_pk_fma_f16 v53, 0xbbddb8d2, v39, v59
	v_pk_mul_f16 v59, 0xbbb2b1e1, v81
	v_bfi_b32 v57, 0xffff, v57, v92
	v_add_f16_e32 v26, v35, v26
	v_sub_f16_e32 v35, v95, v38
	v_pk_add_f16 v37, v53, v37
	v_pk_fma_f16 v38, 0xb461bbdd, v80, v59
	v_pk_mul_f16 v53, 0xb5c8bbb2, v33
	v_bfi_b32 v55, 0xffff, v58, v55
	v_add_f16_e32 v26, v35, v26
	v_sub_f16_e32 v14, v14, v47
	v_pk_add_f16 v35, v38, v37
	v_pk_fma_f16 v37, 0x3b76b461, v82, v53
	v_pk_mul_f16 v38, 0x3b29b964, v86
	v_pk_add_f16 v47, v57, v55 neg_lo:[0,1] neg_hi:[0,1]
	v_add_f16_e32 v14, v14, v26
	v_sub_f16_e32 v26, v96, v48
	v_pk_add_f16 v35, v37, v35
	v_pk_fma_f16 v37, 0x372239e9, v84, v38
	v_pk_mul_f16 v38, 0x383635c8, v88
	v_pack_b32_f16 v89, v52, v52
	v_pk_mul_f16 v98, 0xb8d23b76, v52 op_sel_hi:[1,0]
	v_pk_add_f16 v47, v47, v5
	v_add_f16_e32 v5, v26, v14
	v_sub_f16_e32 v14, v97, v51
	v_pk_add_f16 v26, v37, v35
	v_pk_fma_f16 v35, 0xbacd3b76, v27, v38
	v_pk_mul_f16 v37, 0xba623bf7, v90
	v_pk_mul_f16 v38, 0xbacdb8d2, v74
	;; [unrolled: 1-line block ×3, first 2 shown]
	v_add_f16_e32 v5, v14, v5
	v_sub_f16_e32 v14, v98, v34
	v_pk_add_f16 v26, v35, v26
	v_pk_fma_f16 v34, 0xb8d22de8, v89, v37
	v_add_f16_e32 v35, v38, v48
	v_pk_mul_f16 v37, 0x3722b461, v39
	v_pk_mul_f16 v51, 0x3b293bb2, v79
	v_add_f16_e32 v5, v14, v5
	v_pk_add_f16 v14, v34, v26
	v_add_f16_e32 v0, v0, v35
	v_pk_fma_f16 v26, 0xbacdb8d2, v74, v48 neg_lo:[0,0,1] neg_hi:[0,0,1]
	v_add_f16_e32 v34, v37, v51
	v_pk_mul_f16 v53, 0xbbf7b5c8, v81
	v_pk_mul_f16 v33, 0x3a62b836, v33
	v_bfi_b32 v38, 0xffff, v101, v38
	v_pk_add_f16 v26, v77, v26
	v_add_f16_e32 v0, v34, v0
	v_pk_fma_f16 v34, 0x3722b461, v39, v51 neg_lo:[0,0,1] neg_hi:[0,0,1]
	v_bfi_b32 v12, 0xffff, v12, v48
	v_pk_mul_f16 v35, 0x2de83b76, v80
	v_bfi_b32 v11, 0xffff, v11, v51
	v_pk_mul_f16 v13, 0x39e9b8d2, v4 op_sel_hi:[1,0]
	v_pk_add_f16 v26, v34, v26
	v_pk_fma_f16 v34, 0x2de83b76, v80, v53 neg_lo:[0,0,1] neg_hi:[0,0,1]
	v_pk_add_f16 v12, v38, v12
	v_mul_f16_e32 v60, 0x39e9, v60
	v_add_f16_e32 v39, v35, v53
	v_pk_mul_f16 v57, 0xb8d2bacd, v82
	v_pk_add_f16 v26, v34, v26
	v_pk_fma_f16 v34, 0xb8d2bacd, v82, v33 neg_lo:[0,0,1] neg_hi:[0,0,1]
	v_pk_mul_f16 v59, 0xb5c83bf7, v86
	v_pk_add_f16 v12, v77, v12
	v_bfi_b32 v10, 0xffff, v10, v53
	v_fmamk_f16 v36, v4, 0xbbdd, v58
	v_pk_add_f16 v26, v34, v26
	v_bfi_b32 v34, 0xffff, v103, v37
	v_add_f16_e32 v0, v39, v0
	v_add_f16_e32 v39, v57, v33
	v_pk_mul_f16 v58, 0x3b762de8, v84
	v_sub_f16_e32 v13, v13, v32
	v_pk_add_f16 v11, v34, v11
	v_bfi_b32 v34, 0xffff, v105, v35
	v_pk_fma_f16 v32, 0x3b762de8, v84, v59 neg_lo:[0,0,1] neg_hi:[0,0,1]
	v_bfi_b32 v7, 0xffff, v7, v33
	v_mul_f16_e32 v54, 0xbbb2, v54
	v_pk_add_f16 v11, v11, v12
	v_pk_add_f16 v10, v34, v10
	v_bfi_b32 v12, 0xffff, v60, v57
	v_add_f16_e32 v0, v39, v0
	v_add_f16_e32 v39, v58, v59
	v_pk_add_f16 v26, v32, v26
	v_pk_mul_f16 v32, 0xbbdd39e9, v27
	v_pk_mul_f16 v37, 0xb1e1b964, v88
	v_pk_add_f16 v10, v10, v11
	v_pk_add_f16 v7, v12, v7
	v_bfi_b32 v9, 0xffff, v9, v58
	v_bfi_b32 v11, 0xffff, v65, v59
	v_pack_b32_f16 v91, v4, v4
	v_pack_b32_f16 v15, v31, v31
	v_fma_f16 v66, v52, 0xb461, -v54
	v_mul_f16_e32 v52, 0xb461, v52
	v_add_f16_e32 v0, v39, v0
	v_pk_mul_f16 v38, 0x39e9bbdd, v89
	v_pk_mul_f16 v39, 0x3964b1e1, v90
	v_pk_fma_f16 v27, 0xbbdd39e9, v27, v37 neg_lo:[0,0,1] neg_hi:[0,0,1]
	v_pk_add_f16 v7, v7, v10
	v_pk_add_f16 v9, v9, v11
	v_bfi_b32 v10, 0xffff, v70, v32
	v_bfi_b32 v11, 0xffff, v56, v37
	v_pk_mul_f16 v55, 0xb9643836, v15
	v_add_f16_e32 v35, v32, v37
	v_pk_add_f16 v12, v27, v26
	v_pk_mul_f16 v26, 0xb4613722, v91
	v_pk_mul_f16 v15, 0xbbb23b29, v15
	v_pk_add_f16 v7, v9, v7
	v_pk_add_f16 v9, v10, v11
	v_bfi_b32 v10, 0xffff, v52, v38
	v_bfi_b32 v11, 0xffff, v54, v39
	v_mul_f16_e32 v27, 0x2de8, v4
	v_mul_f16_e32 v31, 0x3bf7, v31
	v_add_f16_e32 v0, v35, v0
	v_add_f16_e32 v33, v38, v39
	;; [unrolled: 1-line block ×3, first 2 shown]
	v_pk_fma_f16 v13, 0x39e9bbdd, v89, v39 neg_lo:[0,0,1] neg_hi:[0,0,1]
	v_pk_add_f16 v7, v9, v7
	v_pk_add_f16 v9, v10, v11
	v_bfi_b32 v10, 0xffff, v27, v26
	v_bfi_b32 v11, 0xffff, v31, v15
	v_pk_fma_f16 v55, 0x39e9bacd, v91, v55
	v_add_f16_e32 v6, v66, v6
	v_add_f16_e32 v0, v33, v0
	v_pk_add_f16 v12, v13, v12
	v_pk_fma_f16 v13, 0xb4613722, v91, v15 neg_lo:[0,0,1] neg_hi:[0,0,1]
	v_add_f16_e32 v15, v26, v15
	v_fma_f16 v4, v4, 0x2de8, -v31
	v_pk_add_f16 v9, v9, v7
	v_pk_add_f16 v10, v10, v11
	v_add_f16_e32 v8, v75, v8
	v_pk_add_f16 v14, v55, v14
	v_lshlrev_b32_e32 v11, 5, v18
	v_add_f16_e32 v0, v15, v0
	v_pk_add_f16 v7, v13, v12
	v_add_f16_e32 v12, v4, v6
	v_pk_add_f16 v9, v10, v9
	v_add_f16_e32 v8, v64, v8
	v_add3_u32 v10, v1, v11, v22
	v_alignbit_b32 v6, v5, v14, 16
	v_alignbit_b32 v5, v14, v47, 16
	v_pack_b32_f16 v4, v68, v47
	v_alignbit_b32 v1, v0, v9, 16
	v_pack_b32_f16 v0, v12, v9
	v_add_f16_e32 v8, v36, v8
	ds_write_b128 v10, v[4:7]
	ds_write_b128 v10, v[0:3] offset:16
	ds_write_b16 v10, v8 offset:32
.LBB0_16:
	s_or_b32 exec_lo, exec_lo, s6
	s_waitcnt lgkmcnt(0)
	s_barrier
	buffer_gl0_inv
	ds_read_u16 v31, v23
	ds_read_u16 v32, v24 offset:136
	ds_read_u16 v38, v24 offset:612
	;; [unrolled: 1-line block ×11, first 2 shown]
	s_and_saveexec_b32 s0, s1
	s_cbranch_execz .LBB0_18
; %bb.17:
	ds_read_u16 v2, v24 offset:408
	ds_read_u16 v3, v24 offset:1360
	s_waitcnt lgkmcnt(1)
	ds_read_u16_d16_hi v2, v24 offset:884
	s_waitcnt lgkmcnt(1)
	ds_read_u16_d16_hi v3, v24 offset:1836
.LBB0_18:
	s_or_b32 exec_lo, exec_lo, s0
	v_and_b32_e32 v0, 0xff, v18
	v_add_nc_u32_e32 v26, 0x44, v18
	v_add_nc_u32_e32 v27, 0x88, v18
	v_mov_b32_e32 v7, 0xf0f1
	v_mov_b32_e32 v6, 3
	v_mul_lo_u16 v0, 0xf1, v0
	v_and_b32_e32 v4, 0xff, v26
	v_and_b32_e32 v1, 0xff, v27
	v_mov_b32_e32 v57, 1
	v_lshrrev_b32_e32 v60, 16, v25
	v_lshrrev_b16 v51, 12, v0
	v_add_nc_u32_e32 v0, 0xcc, v18
	v_mul_lo_u16 v4, 0xf1, v4
	v_mul_lo_u16 v8, 0xf1, v1
	s_waitcnt lgkmcnt(1)
	v_lshrrev_b32_e32 v61, 16, v2
	v_mul_lo_u16 v5, v51, 17
	v_and_b32_e32 v51, 0xffff, v51
	v_lshrrev_b16 v54, 12, v4
	v_mul_u32_u24_sdwa v4, v0, v7 dst_sel:DWORD dst_unused:UNUSED_PAD src0_sel:WORD_0 src1_sel:DWORD
	v_lshrrev_b16 v56, 12, v8
	v_sub_nc_u16 v55, v18, v5
	v_mad_u32_u24 v63, 0x88, v51, 0
	v_mul_lo_u16 v5, v54, 17
	v_lshrrev_b32_e32 v4, 20, v4
	v_mul_lo_u16 v8, v56, 17
	v_mul_u32_u24_sdwa v7, v55, v6 dst_sel:DWORD dst_unused:UNUSED_PAD src0_sel:BYTE_0 src1_sel:DWORD
	v_and_b32_e32 v54, 0xffff, v54
	v_sub_nc_u16 v58, v26, v5
	v_mul_lo_u16 v4, v4, 17
	v_sub_nc_u16 v59, v27, v8
	v_lshlrev_b32_e32 v5, 2, v7
	v_and_b32_e32 v56, 0xffff, v56
	v_mul_u32_u24_sdwa v7, v58, v6 dst_sel:DWORD dst_unused:UNUSED_PAD src0_sel:BYTE_0 src1_sel:DWORD
	v_sub_nc_u16 v37, v0, v4
	v_mul_u32_u24_sdwa v4, v59, v6 dst_sel:DWORD dst_unused:UNUSED_PAD src0_sel:BYTE_0 src1_sel:DWORD
	global_load_dwordx3 v[13:15], v5, s[12:13]
	v_lshlrev_b32_sdwa v55, v57, v55 dst_sel:DWORD dst_unused:UNUSED_PAD src0_sel:DWORD src1_sel:BYTE_0
	v_lshlrev_b32_e32 v5, 2, v7
	v_mul_u32_u24_sdwa v6, v37, v6 dst_sel:DWORD dst_unused:UNUSED_PAD src0_sel:WORD_0 src1_sel:DWORD
	v_lshlrev_b32_e32 v4, 2, v4
	v_mad_u32_u24 v54, 0x88, v54, 0
	v_mad_u32_u24 v64, 0x88, v56, 0
	global_load_dwordx3 v[10:12], v5, s[12:13]
	v_lshlrev_b32_e32 v5, 2, v6
	s_clause 0x1
	global_load_dwordx3 v[7:9], v4, s[12:13]
	global_load_dwordx3 v[4:6], v5, s[12:13]
	v_lshlrev_b32_sdwa v58, v57, v58 dst_sel:DWORD dst_unused:UNUSED_PAD src0_sel:DWORD src1_sel:BYTE_0
	v_lshlrev_b32_sdwa v59, v57, v59 dst_sel:DWORD dst_unused:UNUSED_PAD src0_sel:DWORD src1_sel:BYTE_0
	v_add3_u32 v56, v63, v55, v22
	v_lshrrev_b32_e32 v62, 16, v19
	s_waitcnt lgkmcnt(0)
	v_lshrrev_b32_e32 v65, 16, v3
	v_add3_u32 v55, v54, v58, v22
	v_add3_u32 v54, v64, v59, v22
	s_load_dwordx2 s[4:5], s[4:5], 0x0
	v_and_b32_e32 v51, 0xff, v0
	s_waitcnt vmcnt(0) lgkmcnt(0)
	s_barrier
	buffer_gl0_inv
	v_mul_f16_sdwa v58, v52, v13 dst_sel:DWORD dst_unused:UNUSED_PAD src0_sel:DWORD src1_sel:WORD_1
	v_mul_f16_sdwa v59, v49, v13 dst_sel:DWORD dst_unused:UNUSED_PAD src0_sel:DWORD src1_sel:WORD_1
	;; [unrolled: 1-line block ×5, first 2 shown]
	v_fmac_f16_e32 v58, v49, v13
	v_fma_f16 v13, v52, v13, -v59
	v_fmac_f16_e32 v63, v29, v14
	v_fmac_f16_e32 v64, v50, v15
	v_fma_f16 v50, v53, v15, -v66
	v_mul_f16_sdwa v52, v38, v10 dst_sel:DWORD dst_unused:UNUSED_PAD src0_sel:DWORD src1_sel:WORD_1
	v_mul_f16_sdwa v15, v43, v10 dst_sel:DWORD dst_unused:UNUSED_PAD src0_sel:DWORD src1_sel:WORD_1
	;; [unrolled: 1-line block ×13, first 2 shown]
	v_fmac_f16_e32 v52, v43, v10
	v_fma_f16 v15, v38, v10, -v15
	v_fmac_f16_e32 v53, v28, v11
	v_fmac_f16_e32 v59, v46, v12
	v_fma_f16 v10, v48, v12, -v66
	v_fmac_f16_e32 v67, v44, v7
	v_fma_f16 v12, v39, v7, -v68
	v_sub_f16_e32 v44, v42, v63
	v_sub_f16_e32 v7, v58, v64
	v_fmac_f16_e32 v69, v30, v8
	v_fmac_f16_e32 v70, v45, v9
	v_fma_f16 v38, v47, v9, -v71
	v_fmac_f16_e32 v49, v60, v4
	v_fma_f16 v4, v61, v4, -v72
	v_sub_f16_e32 v43, v13, v50
	v_fma_f16 v45, v65, v6, -v74
	v_fma_f16 v46, v42, 2.0, -v44
	v_fma_f16 v47, v58, 2.0, -v7
	v_sub_f16_e32 v50, v40, v53
	v_sub_f16_e32 v9, v52, v59
	v_mul_f16_sdwa v73, v65, v6 dst_sel:DWORD dst_unused:UNUSED_PAD src0_sel:DWORD src1_sel:WORD_1
	v_sub_f16_e32 v42, v15, v10
	v_sub_f16_e32 v53, v41, v69
	v_sub_f16_e32 v10, v67, v70
	v_sub_f16_e32 v39, v12, v38
	v_sub_f16_e32 v38, v4, v45
	v_sub_f16_e32 v45, v46, v47
	v_fma_f16 v40, v40, 2.0, -v50
	v_fma_f16 v47, v52, 2.0, -v9
	v_fmac_f16_e32 v73, v62, v6
	v_add_f16_e32 v48, v44, v43
	v_add_f16_e32 v52, v50, v42
	v_fma_f16 v41, v41, 2.0, -v53
	v_fma_f16 v58, v67, 2.0, -v10
	v_sub_f16_e32 v47, v40, v47
	v_sub_f16_e32 v6, v49, v73
	v_fma_f16 v44, v44, 2.0, -v48
	v_add_f16_e32 v59, v53, v39
	ds_write_b16 v56, v48 offset:102
	v_fma_f16 v46, v46, 2.0, -v45
	v_fma_f16 v48, v50, 2.0, -v52
	v_sub_f16_e32 v50, v41, v58
	v_fma_f16 v40, v40, 2.0, -v47
	v_fma_f16 v53, v53, 2.0, -v59
	ds_write_b16 v56, v44 offset:34
	ds_write_b16 v56, v45 offset:68
	v_fma_f16 v41, v41, 2.0, -v50
	ds_write_b16 v56, v46
	ds_write_b16 v55, v48 offset:34
	ds_write_b16 v55, v47 offset:68
	;; [unrolled: 1-line block ×3, first 2 shown]
	ds_write_b16 v55, v40
	ds_write_b16 v54, v41
	ds_write_b16 v54, v53 offset:34
	ds_write_b16 v54, v50 offset:68
	;; [unrolled: 1-line block ×3, first 2 shown]
	s_and_saveexec_b32 s0, s1
	s_cbranch_execz .LBB0_20
; %bb.19:
	v_mul_f16_sdwa v40, v3, v5 dst_sel:DWORD dst_unused:UNUSED_PAD src0_sel:DWORD src1_sel:WORD_1
	v_mul_lo_u16 v41, 0xf1, v51
	v_fma_f16 v44, v49, 2.0, -v6
	v_lshlrev_b32_sdwa v45, v57, v37 dst_sel:DWORD dst_unused:UNUSED_PAD src0_sel:DWORD src1_sel:WORD_0
	v_fmac_f16_e32 v40, v19, v5
	v_lshrrev_b16 v41, 12, v41
	v_sub_f16_e32 v40, v25, v40
	v_and_b32_e32 v41, 0xffff, v41
	v_fma_f16 v25, v25, 2.0, -v40
	v_add_f16_e32 v46, v40, v38
	v_mad_u32_u24 v41, 0x88, v41, 0
	v_sub_f16_e32 v44, v25, v44
	v_fma_f16 v40, v40, 2.0, -v46
	v_add3_u32 v41, v41, v45, v22
	v_fma_f16 v25, v25, 2.0, -v44
	ds_write_b16 v41, v40 offset:34
	ds_write_b16 v41, v44 offset:68
	ds_write_b16 v41, v25
	ds_write_b16 v41, v46 offset:102
.LBB0_20:
	s_or_b32 exec_lo, exec_lo, s0
	v_mul_f16_sdwa v25, v29, v14 dst_sel:DWORD dst_unused:UNUSED_PAD src0_sel:DWORD src1_sel:WORD_1
	v_mul_f16_sdwa v28, v28, v11 dst_sel:DWORD dst_unused:UNUSED_PAD src0_sel:DWORD src1_sel:WORD_1
	;; [unrolled: 1-line block ×3, first 2 shown]
	v_fma_f16 v13, v13, 2.0, -v43
	v_fma_f16 v15, v15, 2.0, -v42
	v_fma_f16 v14, v36, v14, -v25
	v_fma_f16 v11, v34, v11, -v28
	v_fma_f16 v8, v35, v8, -v29
	v_fma_f16 v12, v12, 2.0, -v39
	s_waitcnt lgkmcnt(0)
	v_sub_f16_e32 v14, v31, v14
	v_sub_f16_e32 v34, v32, v11
	;; [unrolled: 1-line block ×3, first 2 shown]
	s_barrier
	buffer_gl0_inv
	v_fma_f16 v8, v31, 2.0, -v14
	v_sub_f16_e32 v36, v14, v7
	v_fma_f16 v32, v32, 2.0, -v34
	v_fma_f16 v33, v33, 2.0, -v35
	v_sub_f16_e32 v39, v34, v9
	v_sub_f16_e32 v40, v8, v13
	;; [unrolled: 1-line block ×3, first 2 shown]
	v_fma_f16 v42, v14, 2.0, -v36
	v_sub_f16_e32 v43, v32, v15
	v_sub_f16_e32 v44, v33, v12
	v_fma_f16 v45, v8, 2.0, -v40
	ds_read_u16 v12, v23
	ds_read_u16 v13, v24 offset:136
	ds_read_u16 v11, v24 offset:272
	;; [unrolled: 1-line block ×13, first 2 shown]
	v_fma_f16 v34, v34, 2.0, -v39
	v_fma_f16 v32, v32, 2.0, -v43
	;; [unrolled: 1-line block ×4, first 2 shown]
	s_waitcnt lgkmcnt(0)
	s_barrier
	buffer_gl0_inv
	ds_write_b16 v56, v45
	ds_write_b16 v56, v42 offset:34
	ds_write_b16 v56, v40 offset:68
	ds_write_b16 v56, v36 offset:102
	ds_write_b16 v55, v32
	ds_write_b16 v55, v34 offset:34
	ds_write_b16 v55, v43 offset:68
	ds_write_b16 v55, v39 offset:102
	;; [unrolled: 4-line block ×3, first 2 shown]
	s_and_saveexec_b32 s0, s1
	s_cbranch_execz .LBB0_22
; %bb.21:
	v_mul_f16_sdwa v19, v19, v5 dst_sel:DWORD dst_unused:UNUSED_PAD src0_sel:DWORD src1_sel:WORD_1
	v_mul_lo_u16 v32, 0xf1, v51
	v_fma_f16 v4, v4, 2.0, -v38
	v_fma_f16 v3, v3, v5, -v19
	v_lshrrev_b16 v5, 12, v32
	v_mov_b32_e32 v19, 1
	v_sub_f16_e32 v3, v2, v3
	v_and_b32_e32 v5, 0xffff, v5
	v_lshlrev_b32_sdwa v19, v19, v37 dst_sel:DWORD dst_unused:UNUSED_PAD src0_sel:DWORD src1_sel:WORD_0
	v_fma_f16 v2, v2, 2.0, -v3
	v_sub_f16_e32 v6, v3, v6
	v_mad_u32_u24 v5, 0x88, v5, 0
	v_sub_f16_e32 v4, v2, v4
	v_fma_f16 v3, v3, 2.0, -v6
	v_add3_u32 v5, v5, v19, v22
	v_fma_f16 v2, v2, 2.0, -v4
	ds_write_b16 v5, v3 offset:34
	ds_write_b16 v5, v4 offset:68
	ds_write_b16 v5, v2
	ds_write_b16 v5, v6 offset:102
.LBB0_22:
	s_or_b32 exec_lo, exec_lo, s0
	v_mul_lo_u16 v1, 0x79, v1
	v_mov_b32_e32 v19, 0
	v_mov_b32_e32 v32, 0xf0f1
	v_add_nc_u32_e32 v4, 0x110, v18
	v_add_nc_u32_e32 v3, 0x154, v18
	v_lshrrev_b16 v5, 13, v1
	v_lshlrev_b64 v[1:2], 2, v[18:19]
	v_mul_u32_u24_sdwa v19, v0, v32 dst_sel:DWORD dst_unused:UNUSED_PAD src0_sel:WORD_0 src1_sel:DWORD
	v_add_nc_u32_e32 v6, 0x198, v18
	v_mul_u32_u24_sdwa v33, v4, v32 dst_sel:DWORD dst_unused:UNUSED_PAD src0_sel:WORD_0 src1_sel:DWORD
	v_mul_u32_u24_sdwa v35, v3, v32 dst_sel:DWORD dst_unused:UNUSED_PAD src0_sel:WORD_0 src1_sel:DWORD
	s_waitcnt lgkmcnt(0)
	v_add_co_u32 v1, s0, s12, v1
	v_add_co_ci_u32_e64 v2, s0, s13, v2, s0
	v_lshrrev_b32_e32 v19, 22, v19
	v_mul_u32_u24_sdwa v32, v6, v32 dst_sel:DWORD dst_unused:UNUSED_PAD src0_sel:WORD_0 src1_sel:DWORD
	s_barrier
	buffer_gl0_inv
	v_mul_lo_u16 v5, 0x44, v5
	v_lshrrev_b32_e32 v33, 22, v33
	v_mul_lo_u16 v19, 0x44, v19
	global_load_dword v1, v[1:2], off offset:204
	v_lshrrev_b32_e32 v2, 22, v35
	v_lshrrev_b32_e32 v32, 22, v32
	v_sub_nc_u16 v5, v27, v5
	v_mov_b32_e32 v34, 2
	v_mul_lo_u16 v33, 0x44, v33
	v_sub_nc_u16 v0, v0, v19
	v_mul_lo_u16 v2, 0x44, v2
	v_mul_lo_u16 v32, 0x44, v32
	v_lshlrev_b32_sdwa v35, v34, v5 dst_sel:DWORD dst_unused:UNUSED_PAD src0_sel:DWORD src1_sel:BYTE_0
	v_sub_nc_u16 v19, v4, v33
	v_mov_b32_e32 v37, 1
	v_sub_nc_u16 v2, v3, v2
	v_lshlrev_b32_sdwa v3, v34, v0 dst_sel:DWORD dst_unused:UNUSED_PAD src0_sel:DWORD src1_sel:WORD_0
	v_sub_nc_u16 v32, v6, v32
	global_load_dword v33, v35, s[12:13] offset:204
	v_lshlrev_b32_sdwa v5, v37, v5 dst_sel:DWORD dst_unused:UNUSED_PAD src0_sel:DWORD src1_sel:BYTE_0
	v_lshlrev_b32_sdwa v36, v34, v2 dst_sel:DWORD dst_unused:UNUSED_PAD src0_sel:DWORD src1_sel:WORD_0
	global_load_dword v3, v3, s[12:13] offset:204
	v_lshlrev_b32_sdwa v35, v34, v19 dst_sel:DWORD dst_unused:UNUSED_PAD src0_sel:DWORD src1_sel:WORD_0
	v_lshlrev_b32_sdwa v34, v34, v32 dst_sel:DWORD dst_unused:UNUSED_PAD src0_sel:DWORD src1_sel:WORD_0
	s_clause 0x2
	global_load_dword v35, v35, s[12:13] offset:204
	global_load_dword v36, v36, s[12:13] offset:204
	;; [unrolled: 1-line block ×3, first 2 shown]
	ds_read_u16 v38, v23
	ds_read_u16 v39, v24 offset:136
	ds_read_u16 v40, v24 offset:272
	;; [unrolled: 1-line block ×13, first 2 shown]
	v_add3_u32 v52, 0, v5, v22
	v_lshlrev_b32_sdwa v5, v37, v19 dst_sel:DWORD dst_unused:UNUSED_PAD src0_sel:DWORD src1_sel:WORD_0
	v_lshlrev_b32_sdwa v0, v37, v0 dst_sel:DWORD dst_unused:UNUSED_PAD src0_sel:DWORD src1_sel:WORD_0
	;; [unrolled: 1-line block ×4, first 2 shown]
	s_waitcnt vmcnt(0) lgkmcnt(0)
	v_add3_u32 v32, 0, v5, v22
	v_add3_u32 v0, 0, v0, v22
	v_add3_u32 v2, 0, v2, v22
	v_add3_u32 v55, 0, v19, v22
	s_barrier
	buffer_gl0_inv
	v_mul_f16_sdwa v5, v44, v1 dst_sel:DWORD dst_unused:UNUSED_PAD src0_sel:DWORD src1_sel:WORD_1
	v_mul_f16_sdwa v37, v30, v1 dst_sel:DWORD dst_unused:UNUSED_PAD src0_sel:DWORD src1_sel:WORD_1
	v_mul_f16_sdwa v53, v46, v1 dst_sel:DWORD dst_unused:UNUSED_PAD src0_sel:DWORD src1_sel:WORD_1
	v_mul_f16_sdwa v54, v31, v1 dst_sel:DWORD dst_unused:UNUSED_PAD src0_sel:DWORD src1_sel:WORD_1
	v_fmac_f16_e32 v5, v30, v1
	v_fma_f16 v19, v44, v1, -v37
	v_fmac_f16_e32 v53, v31, v1
	v_fma_f16 v1, v46, v1, -v54
	v_sub_f16_e32 v5, v12, v5
	v_sub_f16_e32 v31, v38, v19
	;; [unrolled: 1-line block ×3, first 2 shown]
	ds_write_b16 v24, v5 offset:136
	ds_write_b16 v24, v19 offset:408
	v_mul_f16_sdwa v22, v47, v33 dst_sel:DWORD dst_unused:UNUSED_PAD src0_sel:DWORD src1_sel:WORD_1
	v_mul_f16_sdwa v30, v29, v33 dst_sel:DWORD dst_unused:UNUSED_PAD src0_sel:DWORD src1_sel:WORD_1
	v_fma_f16 v12, v12, 2.0, -v5
	v_fma_f16 v13, v13, 2.0, -v19
	ds_write_b16 v24, v12
	ds_write_b16 v24, v13 offset:272
	v_fmac_f16_e32 v22, v29, v33
	v_fma_f16 v29, v47, v33, -v30
	v_mul_f16_sdwa v30, v48, v3 dst_sel:DWORD dst_unused:UNUSED_PAD src0_sel:DWORD src1_sel:WORD_1
	v_mul_f16_sdwa v37, v49, v35 dst_sel:DWORD dst_unused:UNUSED_PAD src0_sel:DWORD src1_sel:WORD_1
	v_mul_f16_sdwa v44, v25, v35 dst_sel:DWORD dst_unused:UNUSED_PAD src0_sel:DWORD src1_sel:WORD_1
	v_mul_f16_sdwa v46, v50, v36 dst_sel:DWORD dst_unused:UNUSED_PAD src0_sel:DWORD src1_sel:WORD_1
	v_mul_f16_sdwa v47, v15, v36 dst_sel:DWORD dst_unused:UNUSED_PAD src0_sel:DWORD src1_sel:WORD_1
	v_mul_f16_sdwa v53, v51, v34 dst_sel:DWORD dst_unused:UNUSED_PAD src0_sel:DWORD src1_sel:WORD_1
	v_mul_f16_sdwa v54, v14, v34 dst_sel:DWORD dst_unused:UNUSED_PAD src0_sel:DWORD src1_sel:WORD_1
	v_fmac_f16_e32 v30, v28, v3
	v_fmac_f16_e32 v37, v25, v35
	v_fma_f16 v5, v49, v35, -v44
	v_fmac_f16_e32 v46, v15, v36
	v_fma_f16 v15, v50, v36, -v47
	v_fmac_f16_e32 v53, v14, v34
	v_sub_f16_e32 v14, v11, v22
	v_fma_f16 v19, v51, v34, -v54
	v_sub_f16_e32 v12, v7, v30
	v_sub_f16_e32 v13, v8, v37
	;; [unrolled: 1-line block ×6, first 2 shown]
	v_fma_f16 v11, v11, 2.0, -v14
	v_fma_f16 v7, v7, 2.0, -v12
	;; [unrolled: 1-line block ×5, first 2 shown]
	v_mul_f16_sdwa v33, v28, v3 dst_sel:DWORD dst_unused:UNUSED_PAD src0_sel:DWORD src1_sel:WORD_1
	v_sub_f16_e32 v35, v45, v19
	ds_write_b16 v52, v14 offset:680
	ds_write_b16 v52, v11 offset:544
	;; [unrolled: 1-line block ×10, first 2 shown]
	s_waitcnt lgkmcnt(0)
	s_barrier
	buffer_gl0_inv
	ds_read_u16 v5, v23
	ds_read_u16 v8, v24 offset:1088
	ds_read_u16 v15, v24 offset:952
	ds_read_u16 v10, v24 offset:816
	ds_read_u16 v13, v24 offset:680
	ds_read_u16 v9, v24 offset:544
	ds_read_u16 v19, v24 offset:408
	ds_read_u16 v11, v24 offset:272
	ds_read_u16 v7, v24 offset:136
	ds_read_u16 v25, v24 offset:1768
	ds_read_u16 v14, v24 offset:1632
	ds_read_u16 v22, v24 offset:1496
	ds_read_u16 v12, v24 offset:1360
	ds_read_u16 v28, v24 offset:1224
	v_fma_f16 v3, v48, v3, -v33
	v_sub_f16_e32 v1, v39, v1
	v_sub_f16_e32 v29, v40, v29
	v_fma_f16 v38, v38, 2.0, -v31
	v_fma_f16 v37, v42, 2.0, -v30
	v_sub_f16_e32 v3, v41, v3
	v_fma_f16 v39, v39, 2.0, -v1
	v_fma_f16 v33, v40, 2.0, -v29
	;; [unrolled: 1-line block ×3, first 2 shown]
	s_waitcnt lgkmcnt(0)
	v_fma_f16 v36, v41, 2.0, -v3
	v_fma_f16 v41, v45, 2.0, -v35
	s_barrier
	buffer_gl0_inv
	ds_write_b16 v24, v38
	ds_write_b16 v24, v31 offset:136
	ds_write_b16 v24, v39 offset:272
	;; [unrolled: 1-line block ×13, first 2 shown]
	s_waitcnt lgkmcnt(0)
	s_barrier
	buffer_gl0_inv
	s_and_saveexec_b32 s0, vcc_lo
	s_cbranch_execz .LBB0_24
; %bb.23:
	v_mul_u32_u24_e32 v0, 6, v26
	v_mul_u32_u24_e32 v30, 6, v18
	v_mul_lo_u32 v49, s5, v20
	v_mul_lo_u32 v50, s4, v21
	v_mad_u64_u32 v[20:21], null, s4, v20, 0
	v_lshlrev_b32_e32 v29, 2, v0
	v_lshlrev_b32_e32 v35, 2, v30
	v_add_nc_u32_e32 v54, 0x220, v18
	v_add_nc_u32_e32 v55, 0x2a8, v18
	;; [unrolled: 1-line block ×3, first 2 shown]
	s_clause 0x3
	global_load_dwordx4 v[0:3], v29, s[12:13] offset:476
	global_load_dwordx2 v[33:34], v29, s[12:13] offset:492
	global_load_dwordx4 v[29:32], v35, s[12:13] offset:476
	global_load_dwordx2 v[35:36], v35, s[12:13] offset:492
	ds_read_u16 v57, v24 offset:952
	ds_read_u16 v58, v24 offset:816
	;; [unrolled: 1-line block ×13, first 2 shown]
	ds_read_u16 v70, v23
	v_mad_u64_u32 v[23:24], null, s2, v18, 0
	v_mul_hi_u32 v51, 0xf0f0f0f1, v26
	v_mad_u64_u32 v[37:38], null, s2, v27, 0
	v_mad_u64_u32 v[39:40], null, s2, v4, 0
	;; [unrolled: 1-line block ×6, first 2 shown]
	v_add3_u32 v21, v21, v50, v49
	v_lshrrev_b32_e32 v71, 7, v51
	v_mad_u64_u32 v[49:50], null, s3, v18, v[24:25]
	v_mad_u64_u32 v[50:51], null, s3, v27, v[38:39]
	v_lshlrev_b64 v[20:21], 2, v[20:21]
	v_mad_u64_u32 v[51:52], null, s3, v4, v[40:41]
	v_mad_u64_u32 v[52:53], null, s3, v6, v[42:43]
	v_mov_b32_e32 v4, v44
	v_mov_b32_e32 v6, v46
	;; [unrolled: 1-line block ×3, first 2 shown]
	v_mad_u32_u24 v71, 0x330, v71, v26
	v_lshlrev_b64 v[16:17], 2, v[16:17]
	v_mad_u64_u32 v[26:27], null, s3, v54, v[4:5]
	v_mad_u64_u32 v[53:54], null, s3, v55, v[6:7]
	v_add_co_u32 v4, vcc_lo, s10, v20
	v_mad_u64_u32 v[54:55], null, s3, v56, v[18:19]
	v_mad_u64_u32 v[55:56], null, s2, v71, 0
	v_add_co_ci_u32_e32 v27, vcc_lo, s11, v21, vcc_lo
	v_mov_b32_e32 v24, v49
	v_mov_b32_e32 v38, v50
	v_add_co_u32 v74, vcc_lo, v4, v16
	v_add_co_ci_u32_e32 v75, vcc_lo, v27, v17, vcc_lo
	v_lshlrev_b64 v[16:17], 2, v[23:24]
	v_mov_b32_e32 v40, v51
	v_add_nc_u32_e32 v6, 0x88, v71
	v_mov_b32_e32 v42, v52
	v_lshlrev_b64 v[23:24], 2, v[37:38]
	v_mov_b32_e32 v46, v53
	v_mov_b32_e32 v4, v56
	v_lshlrev_b64 v[37:38], 2, v[39:40]
	v_add_co_u32 v16, vcc_lo, v74, v16
	v_mad_u64_u32 v[20:21], null, s2, v6, 0
	v_mov_b32_e32 v44, v26
	v_lshlrev_b64 v[26:27], 2, v[41:42]
	v_lshlrev_b64 v[41:42], 2, v[45:46]
	v_mad_u64_u32 v[45:46], null, s3, v71, v[4:5]
	v_add_co_ci_u32_e32 v17, vcc_lo, v75, v17, vcc_lo
	v_add_co_u32 v23, vcc_lo, v74, v23
	v_add_co_ci_u32_e32 v24, vcc_lo, v75, v24, vcc_lo
	v_lshlrev_b64 v[39:40], 2, v[43:44]
	v_add_co_u32 v37, vcc_lo, v74, v37
	v_mov_b32_e32 v48, v54
	v_add_co_ci_u32_e32 v38, vcc_lo, v75, v38, vcc_lo
	v_mov_b32_e32 v4, v21
	v_add_co_u32 v26, vcc_lo, v74, v26
	v_mov_b32_e32 v56, v45
	v_add_co_ci_u32_e32 v27, vcc_lo, v75, v27, vcc_lo
	v_lshlrev_b64 v[43:44], 2, v[47:48]
	v_add_co_u32 v39, vcc_lo, v74, v39
	v_mad_u64_u32 v[46:47], null, s3, v6, v[4:5]
	v_add_co_ci_u32_e32 v40, vcc_lo, v75, v40, vcc_lo
	v_add_co_u32 v41, vcc_lo, v74, v41
	v_lshlrev_b64 v[47:48], 2, v[55:56]
	v_add_co_ci_u32_e32 v42, vcc_lo, v75, v42, vcc_lo
	v_add_co_u32 v43, vcc_lo, v74, v43
	v_add_co_ci_u32_e32 v44, vcc_lo, v75, v44, vcc_lo
	v_add_co_u32 v45, vcc_lo, v74, v47
	v_mov_b32_e32 v21, v46
	v_add_co_ci_u32_e32 v46, vcc_lo, v75, v48, vcc_lo
	v_add_nc_u32_e32 v18, 0x110, v71
	v_add_nc_u32_e32 v73, 0x220, v71
	;; [unrolled: 1-line block ×3, first 2 shown]
	v_lshlrev_b64 v[20:21], 2, v[20:21]
	v_mad_u64_u32 v[49:50], null, s2, v18, 0
	v_mad_u64_u32 v[51:52], null, s2, v72, 0
	v_add_co_u32 v20, vcc_lo, v74, v20
	v_add_co_ci_u32_e32 v21, vcc_lo, v75, v21, vcc_lo
	s_waitcnt vmcnt(3)
	v_lshrrev_b32_e32 v4, 16, v0
	v_lshrrev_b32_e32 v6, 16, v1
	;; [unrolled: 1-line block ×4, first 2 shown]
	v_mul_f16_e32 v53, v19, v0
	s_waitcnt vmcnt(2)
	v_lshrrev_b32_e32 v54, 16, v33
	v_lshrrev_b32_e32 v55, 16, v34
	v_mul_f16_e32 v56, v25, v34
	v_mul_f16_e32 v76, v28, v3
	;; [unrolled: 1-line block ×5, first 2 shown]
	s_waitcnt vmcnt(1)
	v_lshrrev_b32_e32 v80, 16, v29
	v_lshrrev_b32_e32 v81, 16, v30
	;; [unrolled: 1-line block ×4, first 2 shown]
	v_mul_f16_e32 v84, v11, v29
	s_waitcnt vmcnt(0)
	v_lshrrev_b32_e32 v85, 16, v35
	v_lshrrev_b32_e32 v86, 16, v36
	v_mul_f16_e32 v87, v14, v36
	v_mul_f16_e32 v88, v8, v32
	;; [unrolled: 1-line block ×5, first 2 shown]
	s_waitcnt lgkmcnt(9)
	v_fmac_f16_e32 v53, v61, v4
	s_waitcnt lgkmcnt(7)
	v_fmac_f16_e32 v56, v63, v55
	;; [unrolled: 2-line block ×3, first 2 shown]
	v_fmac_f16_e32 v77, v57, v47
	v_fmac_f16_e32 v78, v59, v6
	;; [unrolled: 1-line block ×3, first 2 shown]
	v_mul_f16_e32 v25, v25, v55
	v_mul_f16_e32 v4, v19, v4
	;; [unrolled: 1-line block ×6, first 2 shown]
	v_fmac_f16_e32 v84, v62, v80
	v_fmac_f16_e32 v87, v64, v86
	s_waitcnt lgkmcnt(2)
	v_fmac_f16_e32 v88, v68, v83
	v_fmac_f16_e32 v89, v58, v82
	;; [unrolled: 1-line block ×4, first 2 shown]
	v_mul_f16_e32 v13, v14, v86
	v_mul_f16_e32 v11, v11, v80
	;; [unrolled: 1-line block ×6, first 2 shown]
	v_sub_f16_e32 v14, v53, v56
	v_sub_f16_e32 v28, v76, v77
	;; [unrolled: 1-line block ×3, first 2 shown]
	v_fma_f16 v25, v63, v34, -v25
	v_fma_f16 v0, v61, v0, -v4
	;; [unrolled: 1-line block ×6, first 2 shown]
	v_add_f16_e32 v6, v53, v56
	v_add_f16_e32 v15, v76, v77
	;; [unrolled: 1-line block ×3, first 2 shown]
	v_sub_f16_e32 v22, v84, v87
	v_sub_f16_e32 v33, v88, v89
	;; [unrolled: 1-line block ×3, first 2 shown]
	v_fma_f16 v13, v64, v36, -v13
	v_fma_f16 v11, v62, v29, -v11
	;; [unrolled: 1-line block ×6, first 2 shown]
	v_add_f16_e32 v29, v84, v87
	v_add_f16_e32 v30, v88, v89
	;; [unrolled: 1-line block ×3, first 2 shown]
	v_sub_f16_e32 v32, v14, v28
	v_sub_f16_e32 v35, v28, v47
	v_add_f16_e32 v28, v28, v47
	v_add_f16_e32 v36, v0, v25
	;; [unrolled: 1-line block ×4, first 2 shown]
	v_sub_f16_e32 v54, v6, v15
	v_sub_f16_e32 v55, v15, v19
	v_add_f16_e32 v56, v6, v19
	v_sub_f16_e32 v0, v0, v25
	v_sub_f16_e32 v2, v3, v2
	;; [unrolled: 1-line block ×7, first 2 shown]
	v_add_f16_e32 v25, v33, v34
	v_add_f16_e32 v33, v11, v13
	v_add_f16_e32 v47, v8, v10
	v_add_f16_e32 v57, v9, v12
	v_sub_f16_e32 v58, v29, v30
	v_sub_f16_e32 v59, v30, v31
	v_add_f16_e32 v60, v29, v31
	v_sub_f16_e32 v11, v11, v13
	v_sub_f16_e32 v8, v8, v10
	;; [unrolled: 1-line block ×5, first 2 shown]
	v_mul_f16_e32 v13, 0x3846, v35
	v_add_f16_e32 v14, v14, v28
	v_sub_f16_e32 v28, v36, v48
	v_sub_f16_e32 v29, v48, v53
	v_add_f16_e32 v31, v36, v53
	v_mul_f16_e32 v34, 0x3a52, v54
	v_mul_f16_e32 v35, 0x2b26, v55
	v_add_f16_e32 v15, v15, v56
	v_sub_f16_e32 v55, v0, v2
	v_sub_f16_e32 v56, v2, v1
	v_add_f16_e32 v2, v2, v1
	v_mul_f16_e32 v61, 0xbb00, v3
	v_sub_f16_e32 v36, v53, v36
	v_sub_f16_e32 v1, v1, v0
	;; [unrolled: 1-line block ×3, first 2 shown]
	v_add_f16_e32 v62, v33, v57
	v_mul_f16_e32 v19, 0x3846, v19
	v_add_f16_e32 v22, v22, v25
	v_sub_f16_e32 v25, v33, v47
	v_mul_f16_e32 v63, 0x3a52, v58
	v_mul_f16_e32 v59, 0x2b26, v59
	v_add_f16_e32 v30, v30, v60
	v_sub_f16_e32 v60, v11, v8
	v_sub_f16_e32 v64, v8, v9
	v_add_f16_e32 v8, v8, v9
	v_mul_f16_e32 v65, 0xbb00, v10
	v_sub_f16_e32 v33, v57, v33
	v_sub_f16_e32 v9, v9, v11
	v_fmamk_f16 v57, v32, 0xb574, v13
	v_mul_f16_e32 v29, 0x2b26, v29
	v_add_f16_e32 v31, v48, v31
	v_fmamk_f16 v48, v54, 0x3a52, v35
	v_add_f16_e32 v7, v7, v15
	v_mul_f16_e32 v54, 0x3846, v56
	v_add_f16_e32 v0, v0, v2
	v_fma_f16 v2, v32, 0x3574, -v61
	v_fma_f16 v32, v4, 0xb9e0, -v34
	v_mul_f16_e32 v34, 0xbb00, v1
	v_fma_f16 v3, v3, 0xbb00, -v13
	v_mul_f16_e32 v53, 0x2b26, v53
	v_add_f16_e32 v47, v47, v62
	v_mul_f16_e32 v66, 0x3a52, v28
	v_fma_f16 v4, v4, 0x39e0, -v35
	v_fmamk_f16 v13, v6, 0xb574, v19
	v_mul_f16_e32 v35, 0x3a52, v25
	v_fmamk_f16 v56, v58, 0x3a52, v59
	v_add_f16_e32 v5, v5, v30
	v_mul_f16_e32 v58, 0x3846, v64
	v_add_f16_e32 v8, v11, v8
	v_fma_f16 v6, v6, 0x3574, -v65
	v_fma_f16 v11, v12, 0xb9e0, -v63
	v_mul_f16_e32 v61, 0xbb00, v9
	v_fma_f16 v10, v10, 0xbb00, -v19
	v_fma_f16 v12, v12, 0x39e0, -v59
	v_fmac_f16_e32 v57, 0xb70e, v14
	v_fmamk_f16 v19, v28, 0x3a52, v29
	s_waitcnt lgkmcnt(1)
	v_add_f16_e32 v28, v69, v31
	v_fmamk_f16 v15, v15, 0xbcab, v7
	v_fmamk_f16 v59, v55, 0xb574, v54
	v_fmac_f16_e32 v2, 0xb70e, v14
	v_fma_f16 v34, v55, 0x3574, -v34
	v_fmac_f16_e32 v3, 0xb70e, v14
	v_fma_f16 v1, v1, 0xbb00, -v54
	v_fmamk_f16 v14, v25, 0x3a52, v53
	s_waitcnt lgkmcnt(0)
	v_add_f16_e32 v25, v70, v47
	v_fma_f16 v62, v36, 0xb9e0, -v66
	v_fma_f16 v29, v36, 0x39e0, -v29
	v_fmac_f16_e32 v13, 0xb70e, v22
	v_fmamk_f16 v30, v30, 0xbcab, v5
	v_fmamk_f16 v36, v60, 0xb574, v58
	v_fmac_f16_e32 v6, 0xb70e, v22
	v_fma_f16 v54, v60, 0x3574, -v61
	v_fmac_f16_e32 v10, 0xb70e, v22
	v_fma_f16 v9, v9, 0xbb00, -v58
	v_fmamk_f16 v22, v31, 0xbcab, v28
	v_fmac_f16_e32 v59, 0xb70e, v0
	v_fmac_f16_e32 v34, 0xb70e, v0
	;; [unrolled: 1-line block ×3, first 2 shown]
	v_add_f16_e32 v0, v4, v15
	v_fmamk_f16 v4, v47, 0xbcab, v25
	v_fma_f16 v35, v33, 0xb9e0, -v35
	v_fma_f16 v33, v33, 0x39e0, -v53
	v_add_f16_e32 v31, v48, v15
	v_add_f16_e32 v32, v32, v15
	;; [unrolled: 1-line block ×3, first 2 shown]
	v_fmac_f16_e32 v36, 0xb70e, v8
	v_add_f16_e32 v11, v11, v30
	v_fmac_f16_e32 v54, 0xb70e, v8
	v_fmac_f16_e32 v9, 0xb70e, v8
	v_add_f16_e32 v8, v12, v30
	v_pack_b32_f16 v5, v5, v25
	v_add_f16_e32 v12, v19, v22
	v_add_f16_e32 v25, v62, v22
	;; [unrolled: 1-line block ×4, first 2 shown]
	v_sub_f16_e32 v30, v0, v1
	v_add_f16_e32 v0, v14, v4
	v_add_f16_e32 v14, v35, v4
	;; [unrolled: 1-line block ×3, first 2 shown]
	v_pack_b32_f16 v7, v7, v28
	v_sub_f16_e32 v28, v32, v34
	v_add_f16_e32 v32, v34, v32
	v_sub_f16_e32 v34, v11, v54
	v_add_f16_e32 v33, v9, v8
	;; [unrolled: 2-line block ×3, first 2 shown]
	v_add_f16_e32 v11, v36, v15
	global_store_dword v[16:17], v5, off
	v_add_f16_e32 v16, v2, v25
	v_sub_f16_e32 v25, v25, v2
	v_add_f16_e32 v2, v13, v0
	v_sub_f16_e32 v0, v0, v13
	v_sub_f16_e32 v17, v22, v3
	v_add_f16_e32 v22, v3, v22
	v_sub_f16_e32 v3, v14, v6
	v_add_f16_e32 v5, v10, v4
	v_sub_f16_e32 v4, v4, v10
	v_sub_f16_e32 v1, v15, v36
	v_add_f16_e32 v6, v6, v14
	v_pack_b32_f16 v0, v11, v0
	v_pack_b32_f16 v3, v9, v3
	;; [unrolled: 1-line block ×6, first 2 shown]
	global_store_dword v[23:24], v0, off
	global_store_dword v[37:38], v3, off
	;; [unrolled: 1-line block ×7, first 2 shown]
	v_mad_u64_u32 v[1:2], null, s2, v73, 0
	v_mov_b32_e32 v0, v50
	v_mov_b32_e32 v3, v52
	v_add_nc_u32_e32 v10, 0x2a8, v71
	v_sub_f16_e32 v19, v31, v59
	v_add_f16_e32 v31, v59, v31
	v_add_f16_e32 v15, v57, v12
	v_mad_u64_u32 v[4:5], null, s3, v18, v[0:1]
	v_sub_f16_e32 v12, v12, v57
	v_mov_b32_e32 v0, v2
	v_add_nc_u32_e32 v13, 0x330, v71
	v_pack_b32_f16 v18, v32, v25
	v_pack_b32_f16 v8, v31, v12
	v_mad_u64_u32 v[5:6], null, s3, v72, v[3:4]
	v_mad_u64_u32 v[6:7], null, s2, v10, 0
	;; [unrolled: 1-line block ×3, first 2 shown]
	global_store_dword v[20:21], v8, off
	v_mad_u64_u32 v[8:9], null, s2, v13, 0
	v_mov_b32_e32 v50, v4
	v_mov_b32_e32 v0, v7
	;; [unrolled: 1-line block ×3, first 2 shown]
	v_lshlrev_b64 v[3:4], 2, v[49:50]
	v_mad_u64_u32 v[10:11], null, s3, v10, v[0:1]
	v_lshlrev_b64 v[1:2], 2, v[1:2]
	v_mov_b32_e32 v0, v9
	v_lshlrev_b64 v[11:12], 2, v[51:52]
	v_add_co_u32 v3, vcc_lo, v74, v3
	v_add_co_ci_u32_e32 v4, vcc_lo, v75, v4, vcc_lo
	v_mad_u64_u32 v[13:14], null, s3, v13, v[0:1]
	v_mov_b32_e32 v7, v10
	v_add_co_u32 v10, vcc_lo, v74, v11
	v_add_co_ci_u32_e32 v11, vcc_lo, v75, v12, vcc_lo
	v_lshlrev_b64 v[5:6], 2, v[6:7]
	v_mov_b32_e32 v9, v13
	v_add_co_u32 v0, vcc_lo, v74, v1
	v_add_co_ci_u32_e32 v1, vcc_lo, v75, v2, vcc_lo
	v_lshlrev_b64 v[7:8], 2, v[8:9]
	v_add_co_u32 v5, vcc_lo, v74, v5
	v_pack_b32_f16 v12, v30, v22
	v_add_co_ci_u32_e32 v6, vcc_lo, v75, v6, vcc_lo
	v_pack_b32_f16 v2, v29, v17
	v_add_co_u32 v7, vcc_lo, v74, v7
	v_pack_b32_f16 v9, v28, v16
	v_add_co_ci_u32_e32 v8, vcc_lo, v75, v8, vcc_lo
	v_pack_b32_f16 v13, v19, v15
	global_store_dword v[3:4], v18, off
	global_store_dword v[10:11], v12, off
	;; [unrolled: 1-line block ×5, first 2 shown]
.LBB0_24:
	s_endpgm
	.section	.rodata,"a",@progbits
	.p2align	6, 0x0
	.amdhsa_kernel fft_rtc_back_len952_factors_17_4_2_7_wgs_204_tpt_68_halfLds_half_op_CI_CI_sbrr_dirReg
		.amdhsa_group_segment_fixed_size 0
		.amdhsa_private_segment_fixed_size 0
		.amdhsa_kernarg_size 104
		.amdhsa_user_sgpr_count 6
		.amdhsa_user_sgpr_private_segment_buffer 1
		.amdhsa_user_sgpr_dispatch_ptr 0
		.amdhsa_user_sgpr_queue_ptr 0
		.amdhsa_user_sgpr_kernarg_segment_ptr 1
		.amdhsa_user_sgpr_dispatch_id 0
		.amdhsa_user_sgpr_flat_scratch_init 0
		.amdhsa_user_sgpr_private_segment_size 0
		.amdhsa_wavefront_size32 1
		.amdhsa_uses_dynamic_stack 0
		.amdhsa_system_sgpr_private_segment_wavefront_offset 0
		.amdhsa_system_sgpr_workgroup_id_x 1
		.amdhsa_system_sgpr_workgroup_id_y 0
		.amdhsa_system_sgpr_workgroup_id_z 0
		.amdhsa_system_sgpr_workgroup_info 0
		.amdhsa_system_vgpr_workitem_id 0
		.amdhsa_next_free_vgpr 107
		.amdhsa_next_free_sgpr 31
		.amdhsa_reserve_vcc 1
		.amdhsa_reserve_flat_scratch 0
		.amdhsa_float_round_mode_32 0
		.amdhsa_float_round_mode_16_64 0
		.amdhsa_float_denorm_mode_32 3
		.amdhsa_float_denorm_mode_16_64 3
		.amdhsa_dx10_clamp 1
		.amdhsa_ieee_mode 1
		.amdhsa_fp16_overflow 0
		.amdhsa_workgroup_processor_mode 1
		.amdhsa_memory_ordered 1
		.amdhsa_forward_progress 0
		.amdhsa_shared_vgpr_count 0
		.amdhsa_exception_fp_ieee_invalid_op 0
		.amdhsa_exception_fp_denorm_src 0
		.amdhsa_exception_fp_ieee_div_zero 0
		.amdhsa_exception_fp_ieee_overflow 0
		.amdhsa_exception_fp_ieee_underflow 0
		.amdhsa_exception_fp_ieee_inexact 0
		.amdhsa_exception_int_div_zero 0
	.end_amdhsa_kernel
	.text
.Lfunc_end0:
	.size	fft_rtc_back_len952_factors_17_4_2_7_wgs_204_tpt_68_halfLds_half_op_CI_CI_sbrr_dirReg, .Lfunc_end0-fft_rtc_back_len952_factors_17_4_2_7_wgs_204_tpt_68_halfLds_half_op_CI_CI_sbrr_dirReg
                                        ; -- End function
	.section	.AMDGPU.csdata,"",@progbits
; Kernel info:
; codeLenInByte = 13964
; NumSgprs: 33
; NumVgprs: 107
; ScratchSize: 0
; MemoryBound: 0
; FloatMode: 240
; IeeeMode: 1
; LDSByteSize: 0 bytes/workgroup (compile time only)
; SGPRBlocks: 4
; VGPRBlocks: 13
; NumSGPRsForWavesPerEU: 33
; NumVGPRsForWavesPerEU: 107
; Occupancy: 9
; WaveLimiterHint : 1
; COMPUTE_PGM_RSRC2:SCRATCH_EN: 0
; COMPUTE_PGM_RSRC2:USER_SGPR: 6
; COMPUTE_PGM_RSRC2:TRAP_HANDLER: 0
; COMPUTE_PGM_RSRC2:TGID_X_EN: 1
; COMPUTE_PGM_RSRC2:TGID_Y_EN: 0
; COMPUTE_PGM_RSRC2:TGID_Z_EN: 0
; COMPUTE_PGM_RSRC2:TIDIG_COMP_CNT: 0
	.text
	.p2alignl 6, 3214868480
	.fill 48, 4, 3214868480
	.type	__hip_cuid_1f87bdd0268407d5,@object ; @__hip_cuid_1f87bdd0268407d5
	.section	.bss,"aw",@nobits
	.globl	__hip_cuid_1f87bdd0268407d5
__hip_cuid_1f87bdd0268407d5:
	.byte	0                               ; 0x0
	.size	__hip_cuid_1f87bdd0268407d5, 1

	.ident	"AMD clang version 19.0.0git (https://github.com/RadeonOpenCompute/llvm-project roc-6.4.0 25133 c7fe45cf4b819c5991fe208aaa96edf142730f1d)"
	.section	".note.GNU-stack","",@progbits
	.addrsig
	.addrsig_sym __hip_cuid_1f87bdd0268407d5
	.amdgpu_metadata
---
amdhsa.kernels:
  - .args:
      - .actual_access:  read_only
        .address_space:  global
        .offset:         0
        .size:           8
        .value_kind:     global_buffer
      - .offset:         8
        .size:           8
        .value_kind:     by_value
      - .actual_access:  read_only
        .address_space:  global
        .offset:         16
        .size:           8
        .value_kind:     global_buffer
      - .actual_access:  read_only
        .address_space:  global
        .offset:         24
        .size:           8
        .value_kind:     global_buffer
      - .actual_access:  read_only
        .address_space:  global
        .offset:         32
        .size:           8
        .value_kind:     global_buffer
      - .offset:         40
        .size:           8
        .value_kind:     by_value
      - .actual_access:  read_only
        .address_space:  global
        .offset:         48
        .size:           8
        .value_kind:     global_buffer
      - .actual_access:  read_only
        .address_space:  global
        .offset:         56
        .size:           8
        .value_kind:     global_buffer
      - .offset:         64
        .size:           4
        .value_kind:     by_value
      - .actual_access:  read_only
        .address_space:  global
        .offset:         72
        .size:           8
        .value_kind:     global_buffer
      - .actual_access:  read_only
        .address_space:  global
        .offset:         80
        .size:           8
        .value_kind:     global_buffer
      - .actual_access:  read_only
        .address_space:  global
        .offset:         88
        .size:           8
        .value_kind:     global_buffer
      - .actual_access:  write_only
        .address_space:  global
        .offset:         96
        .size:           8
        .value_kind:     global_buffer
    .group_segment_fixed_size: 0
    .kernarg_segment_align: 8
    .kernarg_segment_size: 104
    .language:       OpenCL C
    .language_version:
      - 2
      - 0
    .max_flat_workgroup_size: 204
    .name:           fft_rtc_back_len952_factors_17_4_2_7_wgs_204_tpt_68_halfLds_half_op_CI_CI_sbrr_dirReg
    .private_segment_fixed_size: 0
    .sgpr_count:     33
    .sgpr_spill_count: 0
    .symbol:         fft_rtc_back_len952_factors_17_4_2_7_wgs_204_tpt_68_halfLds_half_op_CI_CI_sbrr_dirReg.kd
    .uniform_work_group_size: 1
    .uses_dynamic_stack: false
    .vgpr_count:     107
    .vgpr_spill_count: 0
    .wavefront_size: 32
    .workgroup_processor_mode: 1
amdhsa.target:   amdgcn-amd-amdhsa--gfx1030
amdhsa.version:
  - 1
  - 2
...

	.end_amdgpu_metadata
